;; amdgpu-corpus repo=ROCm/rocFFT kind=compiled arch=gfx1100 opt=O3
	.text
	.amdgcn_target "amdgcn-amd-amdhsa--gfx1100"
	.amdhsa_code_object_version 6
	.protected	fft_rtc_back_len1512_factors_2_2_2_3_3_3_7_wgs_63_tpt_63_halfLds_dp_op_CI_CI_sbrr_dirReg ; -- Begin function fft_rtc_back_len1512_factors_2_2_2_3_3_3_7_wgs_63_tpt_63_halfLds_dp_op_CI_CI_sbrr_dirReg
	.globl	fft_rtc_back_len1512_factors_2_2_2_3_3_3_7_wgs_63_tpt_63_halfLds_dp_op_CI_CI_sbrr_dirReg
	.p2align	8
	.type	fft_rtc_back_len1512_factors_2_2_2_3_3_3_7_wgs_63_tpt_63_halfLds_dp_op_CI_CI_sbrr_dirReg,@function
fft_rtc_back_len1512_factors_2_2_2_3_3_3_7_wgs_63_tpt_63_halfLds_dp_op_CI_CI_sbrr_dirReg: ; @fft_rtc_back_len1512_factors_2_2_2_3_3_3_7_wgs_63_tpt_63_halfLds_dp_op_CI_CI_sbrr_dirReg
; %bb.0:
	s_clause 0x2
	s_load_b128 s[16:19], s[0:1], 0x18
	s_load_b128 s[4:7], s[0:1], 0x0
	;; [unrolled: 1-line block ×3, first 2 shown]
	v_mul_u32_u24_e32 v1, 0x411, v0
	v_mov_b32_e32 v4, 0
	v_mov_b32_e32 v5, 0
	s_waitcnt lgkmcnt(0)
	s_load_b64 s[20:21], s[16:17], 0x0
	s_load_b64 s[12:13], s[18:19], 0x0
	v_lshrrev_b32_e32 v2, 16, v1
	v_mov_b32_e32 v1, 0
	v_cmp_lt_u64_e64 s2, s[6:7], 2
	s_delay_alu instid0(VALU_DEP_2) | instskip(NEXT) | instid1(VALU_DEP_2)
	v_dual_mov_b32 v7, v1 :: v_dual_add_nc_u32 v6, s15, v2
	s_and_b32 vcc_lo, exec_lo, s2
	s_cbranch_vccnz .LBB0_8
; %bb.1:
	s_load_b64 s[2:3], s[0:1], 0x10
	v_mov_b32_e32 v4, 0
	v_mov_b32_e32 v5, 0
	s_add_u32 s14, s18, 8
	s_addc_u32 s15, s19, 0
	s_add_u32 s22, s16, 8
	s_addc_u32 s23, s17, 0
	v_dual_mov_b32 v113, v5 :: v_dual_mov_b32 v112, v4
	s_mov_b64 s[26:27], 1
	s_waitcnt lgkmcnt(0)
	s_add_u32 s24, s2, 8
	s_addc_u32 s25, s3, 0
.LBB0_2:                                ; =>This Inner Loop Header: Depth=1
	s_load_b64 s[28:29], s[24:25], 0x0
                                        ; implicit-def: $vgpr114_vgpr115
	s_mov_b32 s2, exec_lo
	s_waitcnt lgkmcnt(0)
	v_or_b32_e32 v2, s29, v7
	s_delay_alu instid0(VALU_DEP_1)
	v_cmpx_ne_u64_e32 0, v[1:2]
	s_xor_b32 s3, exec_lo, s2
	s_cbranch_execz .LBB0_4
; %bb.3:                                ;   in Loop: Header=BB0_2 Depth=1
	v_cvt_f32_u32_e32 v2, s28
	v_cvt_f32_u32_e32 v3, s29
	s_sub_u32 s2, 0, s28
	s_subb_u32 s30, 0, s29
	s_delay_alu instid0(VALU_DEP_1) | instskip(NEXT) | instid1(VALU_DEP_1)
	v_fmac_f32_e32 v2, 0x4f800000, v3
	v_rcp_f32_e32 v2, v2
	s_waitcnt_depctr 0xfff
	v_mul_f32_e32 v2, 0x5f7ffffc, v2
	s_delay_alu instid0(VALU_DEP_1) | instskip(NEXT) | instid1(VALU_DEP_1)
	v_mul_f32_e32 v3, 0x2f800000, v2
	v_trunc_f32_e32 v3, v3
	s_delay_alu instid0(VALU_DEP_1) | instskip(SKIP_1) | instid1(VALU_DEP_2)
	v_fmac_f32_e32 v2, 0xcf800000, v3
	v_cvt_u32_f32_e32 v3, v3
	v_cvt_u32_f32_e32 v2, v2
	s_delay_alu instid0(VALU_DEP_2) | instskip(NEXT) | instid1(VALU_DEP_2)
	v_mul_lo_u32 v8, s2, v3
	v_mul_hi_u32 v9, s2, v2
	v_mul_lo_u32 v10, s30, v2
	s_delay_alu instid0(VALU_DEP_2) | instskip(SKIP_1) | instid1(VALU_DEP_2)
	v_add_nc_u32_e32 v8, v9, v8
	v_mul_lo_u32 v9, s2, v2
	v_add_nc_u32_e32 v8, v8, v10
	s_delay_alu instid0(VALU_DEP_2) | instskip(NEXT) | instid1(VALU_DEP_2)
	v_mul_hi_u32 v10, v2, v9
	v_mul_lo_u32 v11, v2, v8
	v_mul_hi_u32 v12, v2, v8
	v_mul_hi_u32 v13, v3, v9
	v_mul_lo_u32 v9, v3, v9
	v_mul_hi_u32 v14, v3, v8
	v_mul_lo_u32 v8, v3, v8
	v_add_co_u32 v10, vcc_lo, v10, v11
	v_add_co_ci_u32_e32 v11, vcc_lo, 0, v12, vcc_lo
	s_delay_alu instid0(VALU_DEP_2) | instskip(NEXT) | instid1(VALU_DEP_2)
	v_add_co_u32 v9, vcc_lo, v10, v9
	v_add_co_ci_u32_e32 v9, vcc_lo, v11, v13, vcc_lo
	v_add_co_ci_u32_e32 v10, vcc_lo, 0, v14, vcc_lo
	s_delay_alu instid0(VALU_DEP_2) | instskip(NEXT) | instid1(VALU_DEP_2)
	v_add_co_u32 v8, vcc_lo, v9, v8
	v_add_co_ci_u32_e32 v9, vcc_lo, 0, v10, vcc_lo
	s_delay_alu instid0(VALU_DEP_2) | instskip(NEXT) | instid1(VALU_DEP_2)
	v_add_co_u32 v2, vcc_lo, v2, v8
	v_add_co_ci_u32_e32 v3, vcc_lo, v3, v9, vcc_lo
	s_delay_alu instid0(VALU_DEP_2) | instskip(SKIP_1) | instid1(VALU_DEP_3)
	v_mul_hi_u32 v8, s2, v2
	v_mul_lo_u32 v10, s30, v2
	v_mul_lo_u32 v9, s2, v3
	s_delay_alu instid0(VALU_DEP_1) | instskip(SKIP_1) | instid1(VALU_DEP_2)
	v_add_nc_u32_e32 v8, v8, v9
	v_mul_lo_u32 v9, s2, v2
	v_add_nc_u32_e32 v8, v8, v10
	s_delay_alu instid0(VALU_DEP_2) | instskip(NEXT) | instid1(VALU_DEP_2)
	v_mul_hi_u32 v10, v2, v9
	v_mul_lo_u32 v11, v2, v8
	v_mul_hi_u32 v12, v2, v8
	v_mul_hi_u32 v13, v3, v9
	v_mul_lo_u32 v9, v3, v9
	v_mul_hi_u32 v14, v3, v8
	v_mul_lo_u32 v8, v3, v8
	v_add_co_u32 v10, vcc_lo, v10, v11
	v_add_co_ci_u32_e32 v11, vcc_lo, 0, v12, vcc_lo
	s_delay_alu instid0(VALU_DEP_2) | instskip(NEXT) | instid1(VALU_DEP_2)
	v_add_co_u32 v9, vcc_lo, v10, v9
	v_add_co_ci_u32_e32 v9, vcc_lo, v11, v13, vcc_lo
	v_add_co_ci_u32_e32 v10, vcc_lo, 0, v14, vcc_lo
	s_delay_alu instid0(VALU_DEP_2) | instskip(NEXT) | instid1(VALU_DEP_2)
	v_add_co_u32 v8, vcc_lo, v9, v8
	v_add_co_ci_u32_e32 v9, vcc_lo, 0, v10, vcc_lo
	s_delay_alu instid0(VALU_DEP_2) | instskip(NEXT) | instid1(VALU_DEP_2)
	v_add_co_u32 v10, vcc_lo, v2, v8
	v_add_co_ci_u32_e32 v12, vcc_lo, v3, v9, vcc_lo
	s_delay_alu instid0(VALU_DEP_2) | instskip(SKIP_1) | instid1(VALU_DEP_3)
	v_mul_hi_u32 v13, v6, v10
	v_mad_u64_u32 v[8:9], null, v7, v10, 0
	v_mad_u64_u32 v[2:3], null, v6, v12, 0
	;; [unrolled: 1-line block ×3, first 2 shown]
	s_delay_alu instid0(VALU_DEP_2) | instskip(NEXT) | instid1(VALU_DEP_3)
	v_add_co_u32 v2, vcc_lo, v13, v2
	v_add_co_ci_u32_e32 v3, vcc_lo, 0, v3, vcc_lo
	s_delay_alu instid0(VALU_DEP_2) | instskip(NEXT) | instid1(VALU_DEP_2)
	v_add_co_u32 v2, vcc_lo, v2, v8
	v_add_co_ci_u32_e32 v2, vcc_lo, v3, v9, vcc_lo
	v_add_co_ci_u32_e32 v3, vcc_lo, 0, v11, vcc_lo
	s_delay_alu instid0(VALU_DEP_2) | instskip(NEXT) | instid1(VALU_DEP_2)
	v_add_co_u32 v8, vcc_lo, v2, v10
	v_add_co_ci_u32_e32 v9, vcc_lo, 0, v3, vcc_lo
	s_delay_alu instid0(VALU_DEP_2) | instskip(SKIP_1) | instid1(VALU_DEP_3)
	v_mul_lo_u32 v10, s29, v8
	v_mad_u64_u32 v[2:3], null, s28, v8, 0
	v_mul_lo_u32 v11, s28, v9
	s_delay_alu instid0(VALU_DEP_2) | instskip(NEXT) | instid1(VALU_DEP_2)
	v_sub_co_u32 v2, vcc_lo, v6, v2
	v_add3_u32 v3, v3, v11, v10
	s_delay_alu instid0(VALU_DEP_1) | instskip(NEXT) | instid1(VALU_DEP_1)
	v_sub_nc_u32_e32 v10, v7, v3
	v_subrev_co_ci_u32_e64 v10, s2, s29, v10, vcc_lo
	v_add_co_u32 v11, s2, v8, 2
	s_delay_alu instid0(VALU_DEP_1) | instskip(SKIP_3) | instid1(VALU_DEP_3)
	v_add_co_ci_u32_e64 v12, s2, 0, v9, s2
	v_sub_co_u32 v13, s2, v2, s28
	v_sub_co_ci_u32_e32 v3, vcc_lo, v7, v3, vcc_lo
	v_subrev_co_ci_u32_e64 v10, s2, 0, v10, s2
	v_cmp_le_u32_e32 vcc_lo, s28, v13
	s_delay_alu instid0(VALU_DEP_3) | instskip(SKIP_1) | instid1(VALU_DEP_4)
	v_cmp_eq_u32_e64 s2, s29, v3
	v_cndmask_b32_e64 v13, 0, -1, vcc_lo
	v_cmp_le_u32_e32 vcc_lo, s29, v10
	v_cndmask_b32_e64 v14, 0, -1, vcc_lo
	v_cmp_le_u32_e32 vcc_lo, s28, v2
	;; [unrolled: 2-line block ×3, first 2 shown]
	v_cndmask_b32_e64 v15, 0, -1, vcc_lo
	v_cmp_eq_u32_e32 vcc_lo, s29, v10
	s_delay_alu instid0(VALU_DEP_2) | instskip(SKIP_3) | instid1(VALU_DEP_3)
	v_cndmask_b32_e64 v2, v15, v2, s2
	v_cndmask_b32_e32 v10, v14, v13, vcc_lo
	v_add_co_u32 v13, vcc_lo, v8, 1
	v_add_co_ci_u32_e32 v14, vcc_lo, 0, v9, vcc_lo
	v_cmp_ne_u32_e32 vcc_lo, 0, v10
	s_delay_alu instid0(VALU_DEP_2) | instskip(SKIP_1) | instid1(VALU_DEP_2)
	v_dual_cndmask_b32 v3, v14, v12 :: v_dual_cndmask_b32 v10, v13, v11
	v_cmp_ne_u32_e32 vcc_lo, 0, v2
	v_dual_cndmask_b32 v115, v9, v3 :: v_dual_cndmask_b32 v114, v8, v10
.LBB0_4:                                ;   in Loop: Header=BB0_2 Depth=1
	s_and_not1_saveexec_b32 s2, s3
	s_cbranch_execz .LBB0_6
; %bb.5:                                ;   in Loop: Header=BB0_2 Depth=1
	v_cvt_f32_u32_e32 v2, s28
	s_sub_i32 s3, 0, s28
	v_mov_b32_e32 v115, v1
	s_delay_alu instid0(VALU_DEP_2) | instskip(SKIP_2) | instid1(VALU_DEP_1)
	v_rcp_iflag_f32_e32 v2, v2
	s_waitcnt_depctr 0xfff
	v_mul_f32_e32 v2, 0x4f7ffffe, v2
	v_cvt_u32_f32_e32 v2, v2
	s_delay_alu instid0(VALU_DEP_1) | instskip(NEXT) | instid1(VALU_DEP_1)
	v_mul_lo_u32 v3, s3, v2
	v_mul_hi_u32 v3, v2, v3
	s_delay_alu instid0(VALU_DEP_1) | instskip(NEXT) | instid1(VALU_DEP_1)
	v_add_nc_u32_e32 v2, v2, v3
	v_mul_hi_u32 v2, v6, v2
	s_delay_alu instid0(VALU_DEP_1) | instskip(SKIP_1) | instid1(VALU_DEP_2)
	v_mul_lo_u32 v3, v2, s28
	v_add_nc_u32_e32 v8, 1, v2
	v_sub_nc_u32_e32 v3, v6, v3
	s_delay_alu instid0(VALU_DEP_1) | instskip(SKIP_1) | instid1(VALU_DEP_2)
	v_subrev_nc_u32_e32 v9, s28, v3
	v_cmp_le_u32_e32 vcc_lo, s28, v3
	v_dual_cndmask_b32 v3, v3, v9 :: v_dual_cndmask_b32 v2, v2, v8
	s_delay_alu instid0(VALU_DEP_1) | instskip(NEXT) | instid1(VALU_DEP_2)
	v_cmp_le_u32_e32 vcc_lo, s28, v3
	v_add_nc_u32_e32 v8, 1, v2
	s_delay_alu instid0(VALU_DEP_1)
	v_cndmask_b32_e32 v114, v2, v8, vcc_lo
.LBB0_6:                                ;   in Loop: Header=BB0_2 Depth=1
	s_or_b32 exec_lo, exec_lo, s2
	s_delay_alu instid0(VALU_DEP_1) | instskip(NEXT) | instid1(VALU_DEP_2)
	v_mul_lo_u32 v8, v115, s28
	v_mul_lo_u32 v9, v114, s29
	s_load_b64 s[2:3], s[22:23], 0x0
	v_mad_u64_u32 v[2:3], null, v114, s28, 0
	s_load_b64 s[28:29], s[14:15], 0x0
	s_add_u32 s26, s26, 1
	s_addc_u32 s27, s27, 0
	s_add_u32 s14, s14, 8
	s_addc_u32 s15, s15, 0
	s_add_u32 s22, s22, 8
	s_delay_alu instid0(VALU_DEP_1) | instskip(SKIP_3) | instid1(VALU_DEP_2)
	v_add3_u32 v3, v3, v9, v8
	v_sub_co_u32 v8, vcc_lo, v6, v2
	s_addc_u32 s23, s23, 0
	s_add_u32 s24, s24, 8
	v_sub_co_ci_u32_e32 v6, vcc_lo, v7, v3, vcc_lo
	s_addc_u32 s25, s25, 0
	s_waitcnt lgkmcnt(0)
	s_delay_alu instid0(VALU_DEP_1)
	v_mul_lo_u32 v9, s2, v6
	v_mul_lo_u32 v10, s3, v8
	v_mad_u64_u32 v[2:3], null, s2, v8, v[4:5]
	v_mul_lo_u32 v11, s28, v6
	v_mul_lo_u32 v12, s29, v8
	v_mad_u64_u32 v[6:7], null, s28, v8, v[112:113]
	v_cmp_ge_u64_e64 s2, s[26:27], s[6:7]
	v_add3_u32 v5, v10, v3, v9
	v_mov_b32_e32 v4, v2
	s_delay_alu instid0(VALU_DEP_4)
	v_add3_u32 v113, v12, v7, v11
	v_mov_b32_e32 v112, v6
	s_and_b32 vcc_lo, exec_lo, s2
	s_cbranch_vccnz .LBB0_9
; %bb.7:                                ;   in Loop: Header=BB0_2 Depth=1
	v_dual_mov_b32 v6, v114 :: v_dual_mov_b32 v7, v115
	s_branch .LBB0_2
.LBB0_8:
	v_dual_mov_b32 v113, v5 :: v_dual_mov_b32 v112, v4
	s_delay_alu instid0(VALU_DEP_2)
	v_dual_mov_b32 v115, v7 :: v_dual_mov_b32 v114, v6
.LBB0_9:
	s_load_b64 s[0:1], s[0:1], 0x28
	v_mul_hi_u32 v1, 0x4104105, v0
	s_lshl_b64 s[6:7], s[6:7], 3
                                        ; implicit-def: $vgpr164
                                        ; implicit-def: $vgpr132
                                        ; implicit-def: $vgpr133
                                        ; implicit-def: $vgpr165
                                        ; implicit-def: $vgpr131
                                        ; implicit-def: $vgpr134
                                        ; implicit-def: $vgpr135
                                        ; implicit-def: $vgpr130
                                        ; implicit-def: $vgpr99
                                        ; implicit-def: $vgpr96
                                        ; implicit-def: $vgpr97
                                        ; implicit-def: $vgpr98
	s_delay_alu instid0(SALU_CYCLE_1) | instskip(SKIP_4) | instid1(VALU_DEP_1)
	s_add_u32 s2, s18, s6
	s_addc_u32 s3, s19, s7
	s_waitcnt lgkmcnt(0)
	v_cmp_gt_u64_e32 vcc_lo, s[0:1], v[114:115]
	v_cmp_le_u64_e64 s0, s[0:1], v[114:115]
	s_and_saveexec_b32 s1, s0
	s_delay_alu instid0(SALU_CYCLE_1)
	s_xor_b32 s0, exec_lo, s1
	s_cbranch_execz .LBB0_11
; %bb.10:
	v_mul_u32_u24_e32 v1, 63, v1
                                        ; implicit-def: $vgpr4_vgpr5
	s_delay_alu instid0(VALU_DEP_1) | instskip(NEXT) | instid1(VALU_DEP_1)
	v_sub_nc_u32_e32 v164, v0, v1
                                        ; implicit-def: $vgpr1
                                        ; implicit-def: $vgpr0
	v_add_nc_u32_e32 v132, 63, v164
	v_add_nc_u32_e32 v133, 0x7e, v164
	;; [unrolled: 1-line block ×11, first 2 shown]
.LBB0_11:
	s_or_saveexec_b32 s1, s0
                                        ; implicit-def: $vgpr78_vgpr79
                                        ; implicit-def: $vgpr46_vgpr47
                                        ; implicit-def: $vgpr74_vgpr75
                                        ; implicit-def: $vgpr50_vgpr51
                                        ; implicit-def: $vgpr82_vgpr83
                                        ; implicit-def: $vgpr54_vgpr55
                                        ; implicit-def: $vgpr86_vgpr87
                                        ; implicit-def: $vgpr58_vgpr59
                                        ; implicit-def: $vgpr90_vgpr91
                                        ; implicit-def: $vgpr62_vgpr63
                                        ; implicit-def: $vgpr94_vgpr95
                                        ; implicit-def: $vgpr66_vgpr67
                                        ; implicit-def: $vgpr70_vgpr71
                                        ; implicit-def: $vgpr42_vgpr43
                                        ; implicit-def: $vgpr34_vgpr35
                                        ; implicit-def: $vgpr26_vgpr27
                                        ; implicit-def: $vgpr38_vgpr39
                                        ; implicit-def: $vgpr30_vgpr31
                                        ; implicit-def: $vgpr14_vgpr15
                                        ; implicit-def: $vgpr10_vgpr11
                                        ; implicit-def: $vgpr18_vgpr19
                                        ; implicit-def: $vgpr6_vgpr7
                                        ; implicit-def: $vgpr22_vgpr23
                                        ; implicit-def: $vgpr2_vgpr3
	s_delay_alu instid0(SALU_CYCLE_1)
	s_xor_b32 exec_lo, exec_lo, s1
	s_cbranch_execz .LBB0_13
; %bb.12:
	s_add_u32 s6, s16, s6
	s_addc_u32 s7, s17, s7
	v_mul_u32_u24_e32 v1, 63, v1
	s_load_b64 s[6:7], s[6:7], 0x0
	v_lshlrev_b64 v[4:5], 4, v[4:5]
	s_delay_alu instid0(VALU_DEP_2) | instskip(NEXT) | instid1(VALU_DEP_1)
	v_sub_nc_u32_e32 v164, v0, v1
	v_mad_u64_u32 v[0:1], null, s20, v164, 0
	v_add_nc_u32_e32 v17, 0x333, v164
	v_add_nc_u32_e32 v133, 0x7e, v164
	;; [unrolled: 1-line block ×7, first 2 shown]
	v_mad_u64_u32 v[30:31], null, s20, v131, 0
	s_waitcnt lgkmcnt(0)
	v_mad_u64_u32 v[2:3], null, s6, v114, 0
	v_mul_lo_u32 v12, s7, v114
	v_mul_lo_u32 v13, s6, v115
	v_add_nc_u32_e32 v165, 0xbd, v164
	v_mad_u64_u32 v[48:49], null, s20, v135, 0
	v_add_nc_u32_e32 v69, 0x5a9, v164
	v_mad_u64_u32 v[10:11], null, s21, v164, v[1:2]
	v_add_nc_u32_e32 v132, 63, v164
	v_add3_u32 v3, v3, v13, v12
	v_mad_u64_u32 v[11:12], null, s20, v17, 0
	v_add_nc_u32_e32 v15, 0x2f4, v164
	v_mad_u64_u32 v[24:25], null, s20, v165, 0
	v_mov_b32_e32 v1, v10
	v_mad_u64_u32 v[8:9], null, s20, v132, 0
	s_delay_alu instid0(VALU_DEP_4) | instskip(SKIP_1) | instid1(VALU_DEP_4)
	v_mad_u64_u32 v[6:7], null, s20, v15, 0
	v_lshlrev_b64 v[2:3], 4, v[2:3]
	v_lshlrev_b64 v[0:1], 4, v[0:1]
	v_add_nc_u32_e32 v18, 0x372, v164
	v_add_nc_u32_e32 v36, 0x3f0, v164
	;; [unrolled: 1-line block ×4, first 2 shown]
	v_mad_u64_u32 v[13:14], null, s21, v15, v[7:8]
	v_add_co_u32 v2, s0, s8, v2
	s_delay_alu instid0(VALU_DEP_1) | instskip(SKIP_1) | instid1(VALU_DEP_4)
	v_add_co_ci_u32_e64 v3, s0, s9, v3, s0
	v_mad_u64_u32 v[14:15], null, s21, v132, v[9:10]
	v_mov_b32_e32 v7, v13
	s_delay_alu instid0(VALU_DEP_4) | instskip(NEXT) | instid1(VALU_DEP_1)
	v_add_co_u32 v44, s0, v2, v4
	v_add_co_ci_u32_e64 v45, s0, v3, v5, s0
	s_delay_alu instid0(VALU_DEP_3) | instskip(NEXT) | instid1(VALU_DEP_3)
	v_lshlrev_b64 v[2:3], 4, v[6:7]
	v_add_co_u32 v0, s0, v44, v0
	v_mad_u64_u32 v[15:16], null, s20, v18, 0
	s_delay_alu instid0(VALU_DEP_4) | instskip(NEXT) | instid1(VALU_DEP_4)
	v_add_co_ci_u32_e64 v1, s0, v45, v1, s0
	v_add_co_u32 v4, s0, v44, v2
	v_mov_b32_e32 v2, v12
	v_add_co_ci_u32_e64 v5, s0, v45, v3, s0
	v_mad_u64_u32 v[6:7], null, s20, v133, 0
	s_delay_alu instid0(VALU_DEP_3)
	v_mad_u64_u32 v[12:13], null, s21, v17, v[2:3]
	s_clause 0x1
	global_load_b128 v[0:3], v[0:1], off
	global_load_b128 v[20:23], v[4:5], off
	v_mov_b32_e32 v5, v16
	v_mov_b32_e32 v9, v14
	v_mad_u64_u32 v[40:41], null, s20, v134, 0
	v_mov_b32_e32 v4, v7
	s_delay_alu instid0(VALU_DEP_4) | instskip(NEXT) | instid1(VALU_DEP_4)
	v_mad_u64_u32 v[13:14], null, s21, v18, v[5:6]
	v_lshlrev_b64 v[7:8], 4, v[8:9]
	v_add_nc_u32_e32 v17, 0x3b1, v164
	v_mad_u64_u32 v[32:33], null, s20, v36, 0
	v_add_nc_u32_e32 v60, 0x4ad, v164
	v_add_nc_u32_e32 v64, 0x4ec, v164
	v_mov_b32_e32 v16, v13
	v_mad_u64_u32 v[9:10], null, s21, v133, v[4:5]
	v_add_co_u32 v4, s0, v44, v7
	v_lshlrev_b64 v[10:11], 4, v[11:12]
	v_add_co_ci_u32_e64 v5, s0, v45, v8, s0
	v_mad_u64_u32 v[26:27], null, s20, v17, 0
	v_mov_b32_e32 v7, v9
	s_delay_alu instid0(VALU_DEP_4) | instskip(NEXT) | instid1(VALU_DEP_1)
	v_add_co_u32 v8, s0, v44, v10
	v_add_co_ci_u32_e64 v9, s0, v45, v11, s0
	s_delay_alu instid0(VALU_DEP_3)
	v_lshlrev_b64 v[6:7], 4, v[6:7]
	v_mov_b32_e32 v12, v25
	v_lshlrev_b64 v[10:11], 4, v[15:16]
	v_add_nc_u32_e32 v96, 0x237, v164
	v_add_nc_u32_e32 v98, 0x2b5, v164
	v_add_co_u32 v13, s0, v44, v6
	s_delay_alu instid0(VALU_DEP_1) | instskip(SKIP_1) | instid1(VALU_DEP_3)
	v_add_co_ci_u32_e64 v14, s0, v45, v7, s0
	v_add_co_u32 v28, s0, v44, v10
	v_mad_u64_u32 v[6:7], null, s21, v165, v[12:13]
	v_mov_b32_e32 v7, v27
	v_add_co_ci_u32_e64 v29, s0, v45, v11, s0
	s_delay_alu instid0(VALU_DEP_2) | instskip(NEXT) | instid1(VALU_DEP_4)
	v_mad_u64_u32 v[10:11], null, s21, v17, v[7:8]
	v_mov_b32_e32 v25, v6
	s_clause 0x1
	global_load_b128 v[4:7], v[4:5], off
	global_load_b128 v[16:19], v[8:9], off
	v_lshlrev_b64 v[24:25], 4, v[24:25]
	v_mov_b32_e32 v27, v10
	s_clause 0x1
	global_load_b128 v[8:11], v[13:14], off
	global_load_b128 v[12:15], v[28:29], off
	v_dual_mov_b32 v28, v31 :: v_dual_mov_b32 v29, v33
	v_lshlrev_b64 v[26:27], 4, v[26:27]
	v_add_co_u32 v24, s0, v44, v24
	s_delay_alu instid0(VALU_DEP_3)
	v_mad_u64_u32 v[33:34], null, s21, v131, v[28:29]
	v_mad_u64_u32 v[34:35], null, s21, v36, v[29:30]
	v_add_nc_u32_e32 v36, 0x42f, v164
	v_mov_b32_e32 v28, v41
	v_add_co_ci_u32_e64 v25, s0, v45, v25, s0
	v_mov_b32_e32 v31, v33
	s_delay_alu instid0(VALU_DEP_4) | instskip(SKIP_2) | instid1(VALU_DEP_4)
	v_mad_u64_u32 v[42:43], null, s20, v36, 0
	v_mov_b32_e32 v33, v34
	v_add_co_u32 v26, s0, v44, v26
	v_lshlrev_b64 v[29:30], 4, v[30:31]
	v_add_co_ci_u32_e64 v27, s0, v45, v27, s0
	s_delay_alu instid0(VALU_DEP_4) | instskip(NEXT) | instid1(VALU_DEP_3)
	v_lshlrev_b64 v[31:32], 4, v[32:33]
	v_mad_u64_u32 v[33:34], null, s21, v134, v[28:29]
	v_mov_b32_e32 v28, v43
	v_add_co_u32 v34, s0, v44, v29
	s_delay_alu instid0(VALU_DEP_1) | instskip(SKIP_1) | instid1(VALU_DEP_4)
	v_add_co_ci_u32_e64 v35, s0, v45, v30, s0
	v_add_co_u32 v46, s0, v44, v31
	v_mad_u64_u32 v[50:51], null, s21, v36, v[28:29]
	v_add_co_ci_u32_e64 v47, s0, v45, v32, s0
	v_mov_b32_e32 v41, v33
	s_clause 0x3
	global_load_b128 v[28:31], v[24:25], off
	global_load_b128 v[36:39], v[26:27], off
	;; [unrolled: 1-line block ×4, first 2 shown]
	v_dual_mov_b32 v46, v49 :: v_dual_add_nc_u32 v47, 0x46e, v164
	v_mov_b32_e32 v43, v50
	v_lshlrev_b64 v[40:41], 4, v[40:41]
	s_delay_alu instid0(VALU_DEP_3) | instskip(NEXT) | instid1(VALU_DEP_4)
	v_mad_u64_u32 v[50:51], null, s20, v47, 0
	v_mad_u64_u32 v[52:53], null, s21, v135, v[46:47]
	s_delay_alu instid0(VALU_DEP_4) | instskip(NEXT) | instid1(VALU_DEP_4)
	v_lshlrev_b64 v[42:43], 4, v[42:43]
	v_add_co_u32 v40, s0, v44, v40
	s_delay_alu instid0(VALU_DEP_1) | instskip(NEXT) | instid1(VALU_DEP_4)
	v_add_co_ci_u32_e64 v41, s0, v45, v41, s0
	v_dual_mov_b32 v46, v51 :: v_dual_mov_b32 v49, v52
	v_mad_u64_u32 v[52:53], null, s20, v130, 0
	s_delay_alu instid0(VALU_DEP_2) | instskip(SKIP_1) | instid1(VALU_DEP_1)
	v_mad_u64_u32 v[54:55], null, s21, v47, v[46:47]
	v_add_co_u32 v46, s0, v44, v42
	v_add_co_ci_u32_e64 v47, s0, v45, v43, s0
	v_lshlrev_b64 v[42:43], 4, v[48:49]
	s_delay_alu instid0(VALU_DEP_4) | instskip(SKIP_1) | instid1(VALU_DEP_2)
	v_dual_mov_b32 v48, v53 :: v_dual_mov_b32 v51, v54
	v_mad_u64_u32 v[54:55], null, s20, v60, 0
	v_mad_u64_u32 v[56:57], null, s21, v130, v[48:49]
	s_delay_alu instid0(VALU_DEP_4) | instskip(NEXT) | instid1(VALU_DEP_1)
	v_add_co_u32 v48, s0, v44, v42
	v_add_co_ci_u32_e64 v49, s0, v45, v43, s0
	v_lshlrev_b64 v[42:43], 4, v[50:51]
	s_delay_alu instid0(VALU_DEP_4) | instskip(SKIP_1) | instid1(VALU_DEP_2)
	v_dual_mov_b32 v50, v55 :: v_dual_mov_b32 v53, v56
	v_mad_u64_u32 v[56:57], null, s20, v99, 0
	v_mad_u64_u32 v[58:59], null, s21, v60, v[50:51]
	s_delay_alu instid0(VALU_DEP_4) | instskip(NEXT) | instid1(VALU_DEP_1)
	;; [unrolled: 8-line block ×5, first 2 shown]
	v_add_co_u32 v56, s0, v44, v42
	v_add_co_ci_u32_e64 v57, s0, v45, v43, s0
	v_lshlrev_b64 v[42:43], 4, v[58:59]
	v_mov_b32_e32 v58, v63
	v_mad_u64_u32 v[65:66], null, s20, v97, 0
	v_mov_b32_e32 v61, v64
	s_delay_alu instid0(VALU_DEP_3) | instskip(SKIP_4) | instid1(VALU_DEP_4)
	v_mad_u64_u32 v[63:64], null, s21, v67, v[58:59]
	v_add_nc_u32_e32 v64, 0x56a, v164
	v_add_co_u32 v72, s0, v44, v42
	v_mov_b32_e32 v42, v66
	v_lshlrev_b64 v[58:59], 4, v[60:61]
	v_mad_u64_u32 v[74:75], null, s20, v64, 0
	v_add_co_ci_u32_e64 v73, s0, v45, v43, s0
	s_delay_alu instid0(VALU_DEP_4) | instskip(SKIP_3) | instid1(VALU_DEP_1)
	v_mad_u64_u32 v[60:61], null, s21, v97, v[42:43]
	v_lshlrev_b64 v[42:43], 4, v[62:63]
	v_mad_u64_u32 v[62:63], null, s20, v69, 0
	v_add_co_u32 v76, s0, v44, v58
	v_add_co_ci_u32_e64 v77, s0, v45, v59, s0
	v_mad_u64_u32 v[58:59], null, s20, v98, 0
	v_dual_mov_b32 v61, v75 :: v_dual_mov_b32 v66, v60
	v_add_co_u32 v78, s0, v44, v42
	v_mov_b32_e32 v42, v63
	s_delay_alu instid0(VALU_DEP_3) | instskip(SKIP_2) | instid1(VALU_DEP_4)
	v_mad_u64_u32 v[67:68], null, s21, v64, v[61:62]
	v_mad_u64_u32 v[60:61], null, s21, v98, v[59:60]
	v_lshlrev_b64 v[63:64], 4, v[65:66]
	v_mad_u64_u32 v[65:66], null, s21, v69, v[42:43]
	v_add_co_ci_u32_e64 v79, s0, v45, v43, s0
	v_mov_b32_e32 v75, v67
	v_mov_b32_e32 v59, v60
	s_clause 0x1
	global_load_b128 v[40:43], v[40:41], off
	global_load_b128 v[68:71], v[46:47], off
	v_lshlrev_b64 v[46:47], 4, v[74:75]
	v_add_co_u32 v74, s0, v44, v63
	v_mov_b32_e32 v63, v65
	v_lshlrev_b64 v[58:59], 4, v[58:59]
	v_add_co_ci_u32_e64 v75, s0, v45, v64, s0
	v_add_co_u32 v46, s0, v44, v46
	s_delay_alu instid0(VALU_DEP_4) | instskip(SKIP_2) | instid1(VALU_DEP_1)
	v_lshlrev_b64 v[60:61], 4, v[62:63]
	v_add_co_ci_u32_e64 v47, s0, v45, v47, s0
	v_add_co_u32 v100, s0, v44, v58
	v_add_co_ci_u32_e64 v101, s0, v45, v59, s0
	s_delay_alu instid0(VALU_DEP_4) | instskip(NEXT) | instid1(VALU_DEP_1)
	v_add_co_u32 v102, s0, v44, v60
	v_add_co_ci_u32_e64 v103, s0, v45, v61, s0
	s_clause 0xb
	global_load_b128 v[64:67], v[48:49], off
	global_load_b128 v[92:95], v[50:51], off
	;; [unrolled: 1-line block ×12, first 2 shown]
.LBB0_13:
	s_or_b32 exec_lo, exec_lo, s1
	s_waitcnt vmcnt(12)
	v_add_f64 v[126:127], v[40:41], -v[68:69]
	v_add_f64 v[118:119], v[28:29], -v[36:37]
	s_waitcnt vmcnt(0)
	v_add_f64 v[168:169], v[44:45], -v[76:77]
	v_add_f64 v[102:103], v[0:1], -v[20:21]
	;; [unrolled: 1-line block ×18, first 2 shown]
	v_lshl_add_u32 v80, v164, 4, 0
	v_lshl_add_u32 v81, v132, 4, 0
	;; [unrolled: 1-line block ×12, first 2 shown]
	s_load_b64 s[2:3], s[2:3], 0x0
	v_lshlrev_b32_e32 v139, 3, v165
	v_lshlrev_b32_e32 v12, 3, v131
	;; [unrolled: 1-line block ×3, first 2 shown]
	v_and_b32_e32 v194, 1, v98
	v_and_b32_e32 v94, 3, v165
	v_fma_f64 v[124:125], v[40:41], 2.0, -v[126:127]
	v_add_f64 v[40:41], v[6:7], -v[18:19]
	v_fma_f64 v[116:117], v[28:29], 2.0, -v[118:119]
	v_add_f64 v[28:29], v[26:27], -v[34:35]
	;; [unrolled: 2-line block ×3, first 2 shown]
	v_fma_f64 v[100:101], v[0:1], 2.0, -v[102:103]
	v_fma_f64 v[104:105], v[4:5], 2.0, -v[106:107]
	;; [unrolled: 1-line block ×5, first 2 shown]
	v_add_f64 v[48:49], v[46:47], -v[78:79]
	v_fma_f64 v[143:144], v[64:65], 2.0, -v[145:146]
	v_fma_f64 v[147:148], v[60:61], 2.0, -v[149:150]
	;; [unrolled: 1-line block ×10, first 2 shown]
	v_lshlrev_b32_e32 v0, 3, v134
	v_lshlrev_b32_e32 v1, 3, v135
	;; [unrolled: 1-line block ×6, first 2 shown]
	v_sub_nc_u32_e32 v140, v176, v12
	v_sub_nc_u32_e32 v141, v177, v0
	;; [unrolled: 1-line block ×8, first 2 shown]
	v_and_b32_e32 v95, 3, v130
	v_and_b32_e32 v205, 0xff, v132
	ds_store_b128 v80, v[100:103]
	ds_store_b128 v81, v[104:107]
	;; [unrolled: 1-line block ×12, first 2 shown]
	v_fma_f64 v[38:39], v[6:7], 2.0, -v[40:41]
	v_fma_f64 v[26:27], v[26:27], 2.0, -v[28:29]
	;; [unrolled: 1-line block ×6, first 2 shown]
	v_lshl_add_u32 v148, v164, 3, 0
	v_lshl_add_u32 v144, v132, 3, 0
	v_lshl_add_u32 v145, v133, 3, 0
	v_sub_nc_u32_e32 v143, v138, v139
	s_waitcnt lgkmcnt(0)
	s_barrier
	buffer_gl0_inv
	v_add_nc_u32_e32 v146, 0x1400, v148
	v_add_nc_u32_e32 v147, 0x1800, v148
	;; [unrolled: 1-line block ×6, first 2 shown]
	ds_load_b64 v[52:53], v148
	ds_load_b64 v[54:55], v144
	;; [unrolled: 1-line block ×12, first 2 shown]
	ds_load_2addr_b64 v[20:23], v146 offset0:116 offset1:179
	ds_load_2addr_b64 v[16:19], v147 offset0:114 offset1:177
	;; [unrolled: 1-line block ×6, first 2 shown]
	s_waitcnt lgkmcnt(0)
	s_barrier
	buffer_gl0_inv
	v_and_b32_e32 v101, 1, v132
	v_and_b32_e32 v102, 1, v165
	;; [unrolled: 1-line block ×5, first 2 shown]
	v_lshlrev_b32_e32 v100, 1, v164
	v_and_b32_e32 v106, 3, v132
	ds_store_b128 v80, v[34:37]
	ds_store_b128 v81, v[38:41]
	;; [unrolled: 1-line block ×9, first 2 shown]
	v_and_b32_e32 v92, 1, v164
	v_lshlrev_b32_e32 v28, 4, v101
	v_lshlrev_b32_e32 v32, 4, v102
	;; [unrolled: 1-line block ×3, first 2 shown]
	ds_store_b128 v181, v[168:171]
	ds_store_b128 v182, v[172:175]
	;; [unrolled: 1-line block ×3, first 2 shown]
	v_lshlrev_b32_e32 v24, 4, v92
	s_waitcnt lgkmcnt(0)
	s_barrier
	buffer_gl0_inv
	s_clause 0x3
	global_load_b128 v[24:27], v24, s[4:5]
	global_load_b128 v[28:31], v28, s[4:5]
	global_load_b128 v[40:43], v32, s[4:5]
	global_load_b128 v[44:47], v33, s[4:5]
	v_lshlrev_b32_e32 v34, 4, v105
	v_lshlrev_b32_e32 v32, 4, v107
	;; [unrolled: 1-line block ×3, first 2 shown]
	s_clause 0x2
	global_load_b128 v[48:51], v34, s[4:5]
	global_load_b128 v[36:39], v32, s[4:5]
	;; [unrolled: 1-line block ×3, first 2 shown]
	ds_load_2addr_b64 v[108:111], v146 offset0:116 offset1:179
	ds_load_2addr_b64 v[116:119], v147 offset0:114 offset1:177
	;; [unrolled: 1-line block ×6, first 2 shown]
	v_lshlrev_b32_e32 v84, 1, v132
	v_lshlrev_b32_e32 v89, 1, v165
	;; [unrolled: 1-line block ×5, first 2 shown]
	v_and_or_b32 v196, 0xfc, v84, v101
	v_lshlrev_b32_e32 v81, 1, v134
	v_lshlrev_b32_e32 v82, 1, v135
	;; [unrolled: 1-line block ×6, first 2 shown]
	v_and_or_b32 v195, 0x7c, v100, v92
	v_and_b32_e32 v99, 3, v164
	v_and_b32_e32 v91, 3, v133
	v_and_or_b32 v197, 0x1fc, v86, v92
	v_and_b32_e32 v93, 3, v135
	v_and_b32_e32 v104, 3, v134
	v_and_or_b32 v103, 0x2fc, v81, v103
	v_and_or_b32 v105, 0x3fc, v83, v105
	v_and_b32_e32 v96, 3, v96
	v_and_b32_e32 v97, 3, v97
	;; [unrolled: 1-line block ×3, first 2 shown]
	v_lshl_add_u32 v103, v103, 3, 0
	v_lshl_add_u32 v105, v105, 3, 0
	v_lshrrev_b32_e32 v202, 3, v134
	v_lshrrev_b32_e32 v203, 3, v135
	v_mul_lo_u16 v205, 0xab, v205
	v_lshrrev_b32_e32 v204, 3, v130
	s_mov_b32 s6, 0xe8584caa
	s_mov_b32 s7, 0xbfebb67a
	v_mul_lo_u32 v208, v203, 24
	s_mov_b32 s9, 0x3febb67a
	v_mul_lo_u32 v204, v204, 24
	s_mov_b32 s8, s6
	v_cmp_gt_u32_e64 s0, 9, v164
	s_waitcnt vmcnt(6) lgkmcnt(5)
	v_mul_f64 v[128:129], v[108:109], v[26:27]
	s_waitcnt vmcnt(5)
	v_mul_f64 v[150:151], v[110:111], v[30:31]
	v_mul_f64 v[30:31], v[22:23], v[30:31]
	v_mul_f64 v[184:185], v[20:21], v[26:27]
	s_waitcnt lgkmcnt(4)
	v_mul_f64 v[162:163], v[116:117], v[26:27]
	s_waitcnt vmcnt(4)
	v_mul_f64 v[166:167], v[118:119], v[42:43]
	v_mul_f64 v[42:43], v[18:19], v[42:43]
	v_mul_f64 v[186:187], v[16:17], v[26:27]
	s_waitcnt lgkmcnt(3)
	;; [unrolled: 6-line block ×5, first 2 shown]
	v_mul_f64 v[180:181], v[158:159], v[26:27]
	v_mul_f64 v[26:27], v[0:1], v[26:27]
	s_waitcnt vmcnt(0)
	v_mul_f64 v[182:183], v[160:161], v[34:35]
	v_mul_f64 v[34:35], v[2:3], v[34:35]
	v_fma_f64 v[20:21], v[20:21], v[24:25], v[128:129]
	v_fma_f64 v[22:23], v[22:23], v[28:29], v[150:151]
	v_fma_f64 v[28:29], v[110:111], v[28:29], -v[30:31]
	v_fma_f64 v[30:31], v[108:109], v[24:25], -v[184:185]
	v_fma_f64 v[16:17], v[16:17], v[24:25], v[162:163]
	v_fma_f64 v[18:19], v[18:19], v[40:41], v[166:167]
	v_fma_f64 v[40:41], v[118:119], v[40:41], -v[42:43]
	v_fma_f64 v[42:43], v[116:117], v[24:25], -v[186:187]
	v_fma_f64 v[12:13], v[12:13], v[24:25], v[168:169]
	v_fma_f64 v[14:15], v[14:15], v[44:45], v[170:171]
	v_fma_f64 v[44:45], v[122:123], v[44:45], -v[46:47]
	v_fma_f64 v[46:47], v[120:121], v[24:25], -v[188:189]
	v_fma_f64 v[8:9], v[8:9], v[24:25], v[172:173]
	v_fma_f64 v[10:11], v[10:11], v[48:49], v[174:175]
	v_fma_f64 v[48:49], v[126:127], v[48:49], -v[50:51]
	v_fma_f64 v[50:51], v[124:125], v[24:25], -v[190:191]
	v_fma_f64 v[4:5], v[4:5], v[24:25], v[176:177]
	v_fma_f64 v[6:7], v[6:7], v[36:37], v[178:179]
	v_fma_f64 v[36:37], v[156:157], v[36:37], -v[38:39]
	v_fma_f64 v[38:39], v[154:155], v[24:25], -v[192:193]
	v_fma_f64 v[0:1], v[0:1], v[24:25], v[180:181]
	v_fma_f64 v[24:25], v[158:159], v[24:25], -v[26:27]
	v_fma_f64 v[2:3], v[2:3], v[32:33], v[182:183]
	v_fma_f64 v[26:27], v[160:161], v[32:33], -v[34:35]
	v_and_or_b32 v166, 0x1fc, v89, v102
	ds_load_b64 v[101:102], v148
	ds_load_b64 v[128:129], v144
	;; [unrolled: 1-line block ×4, first 2 shown]
	v_and_or_b32 v170, 0x4fc, v87, v107
	ds_load_b64 v[32:33], v140
	ds_load_b64 v[34:35], v141
	;; [unrolled: 1-line block ×8, first 2 shown]
	v_and_or_b32 v167, 0x3fc, v80, v92
	v_and_or_b32 v168, 0x3fc, v82, v92
	;; [unrolled: 1-line block ×5, first 2 shown]
	v_lshlrev_b32_e32 v183, 4, v106
	v_lshl_add_u32 v186, v195, 3, 0
	v_lshlrev_b32_e32 v184, 4, v99
	v_lshl_add_u32 v187, v196, 3, 0
	v_lshlrev_b32_e32 v180, 4, v91
	v_add_f64 v[20:21], v[52:53], -v[20:21]
	v_add_f64 v[22:23], v[54:55], -v[22:23]
	v_lshl_add_u32 v188, v197, 3, 0
	v_lshlrev_b32_e32 v111, 4, v94
	s_waitcnt lgkmcnt(11)
	v_add_f64 v[30:31], v[101:102], -v[30:31]
	s_waitcnt lgkmcnt(10)
	v_add_f64 v[28:29], v[128:129], -v[28:29]
	v_add_f64 v[16:17], v[56:57], -v[16:17]
	s_waitcnt lgkmcnt(9)
	v_add_f64 v[42:43], v[150:151], -v[42:43]
	;; [unrolled: 3-line block ×11, first 2 shown]
	v_lshl_add_u32 v189, v166, 3, 0
	v_lshlrev_b32_e32 v154, 4, v93
	v_lshl_add_u32 v190, v167, 3, 0
	v_lshlrev_b32_e32 v185, 4, v104
	v_lshl_add_u32 v191, v168, 3, 0
	v_lshl_add_u32 v192, v169, 3, 0
	;; [unrolled: 1-line block ×5, first 2 shown]
	s_barrier
	buffer_gl0_inv
	v_fma_f64 v[52:53], v[52:53], 2.0, -v[20:21]
	v_fma_f64 v[54:55], v[54:55], 2.0, -v[22:23]
	v_lshlrev_b32_e32 v181, 4, v95
	v_lshlrev_b32_e32 v182, 4, v96
	v_fma_f64 v[101:102], v[101:102], 2.0, -v[30:31]
	v_fma_f64 v[124:125], v[128:129], 2.0, -v[28:29]
	;; [unrolled: 1-line block ×22, first 2 shown]
	v_and_or_b32 v87, 0x4f8, v87, v96
	v_and_or_b32 v88, 0x5f8, v88, v97
	;; [unrolled: 1-line block ×4, first 2 shown]
	ds_store_2addr_b64 v186, v[52:53], v[20:21] offset1:2
	ds_store_2addr_b64 v187, v[54:55], v[22:23] offset1:2
	;; [unrolled: 1-line block ×12, first 2 shown]
	s_waitcnt lgkmcnt(0)
	s_barrier
	buffer_gl0_inv
	ds_load_b64 v[150:151], v148
	ds_load_b64 v[155:156], v144
	;; [unrolled: 1-line block ×12, first 2 shown]
	ds_load_2addr_b64 v[0:3], v146 offset0:116 offset1:179
	ds_load_2addr_b64 v[4:7], v147 offset0:114 offset1:177
	;; [unrolled: 1-line block ×6, first 2 shown]
	s_waitcnt lgkmcnt(0)
	s_barrier
	buffer_gl0_inv
	ds_store_2addr_b64 v186, v[101:102], v[30:31] offset1:2
	ds_store_2addr_b64 v187, v[124:125], v[28:29] offset1:2
	;; [unrolled: 1-line block ×12, first 2 shown]
	s_waitcnt lgkmcnt(0)
	s_barrier
	buffer_gl0_inv
	s_clause 0x5
	global_load_b128 v[24:27], v183, s[4:5] offset:32
	global_load_b128 v[28:31], v184, s[4:5] offset:32
	;; [unrolled: 1-line block ×6, first 2 shown]
	v_lshlrev_b32_e32 v56, 4, v97
	v_lshlrev_b32_e32 v60, 4, v98
	s_clause 0x3
	global_load_b128 v[48:51], v181, s[4:5] offset:32
	global_load_b128 v[52:55], v182, s[4:5] offset:32
	;; [unrolled: 1-line block ×4, first 2 shown]
	ds_load_2addr_b64 v[64:67], v146 offset0:116 offset1:179
	ds_load_2addr_b64 v[68:71], v147 offset0:114 offset1:177
	;; [unrolled: 1-line block ×6, first 2 shown]
	v_and_or_b32 v103, 0xf8, v84, v106
	v_and_or_b32 v94, 0x2f8, v81, v104
	;; [unrolled: 1-line block ×5, first 2 shown]
	v_and_b32_e32 v111, 7, v132
	v_add_nc_u32_e32 v154, 0x1000, v148
	v_lshrrev_b32_e32 v163, 3, v164
	s_delay_alu instid0(VALU_DEP_3) | instskip(NEXT) | instid1(VALU_DEP_2)
	v_lshlrev_b32_e32 v97, 5, v111
	v_mul_u32_u24_e32 v163, 24, v163
	s_waitcnt vmcnt(7) lgkmcnt(4)
	v_mul_f64 v[126:127], v[68:69], v[34:35]
	s_waitcnt vmcnt(6)
	v_mul_f64 v[128:129], v[70:71], v[38:39]
	v_mul_f64 v[101:102], v[64:65], v[30:31]
	s_waitcnt lgkmcnt(3)
	v_mul_f64 v[180:181], v[72:73], v[30:31]
	v_mul_f64 v[34:35], v[4:5], v[34:35]
	;; [unrolled: 1-line block ×6, first 2 shown]
	s_waitcnt vmcnt(5) lgkmcnt(2)
	v_mul_f64 v[184:185], v[107:108], v[42:43]
	v_mul_f64 v[42:43], v[12:13], v[42:43]
	;; [unrolled: 1-line block ×3, first 2 shown]
	s_waitcnt vmcnt(4)
	v_mul_f64 v[182:183], v[74:75], v[46:47]
	v_mul_f64 v[46:47], v[10:11], v[46:47]
	s_waitcnt vmcnt(3)
	v_mul_f64 v[186:187], v[109:110], v[50:51]
	v_mul_f64 v[50:51], v[14:15], v[50:51]
	s_waitcnt lgkmcnt(1)
	v_mul_f64 v[188:189], v[116:117], v[30:31]
	v_mul_f64 v[30:31], v[16:17], v[30:31]
	s_waitcnt vmcnt(2)
	v_mul_f64 v[190:191], v[118:119], v[54:55]
	v_mul_f64 v[54:55], v[18:19], v[54:55]
	s_waitcnt vmcnt(1) lgkmcnt(0)
	v_mul_f64 v[192:193], v[120:121], v[58:59]
	v_mul_f64 v[58:59], v[20:21], v[58:59]
	s_waitcnt vmcnt(0)
	v_mul_f64 v[194:195], v[122:123], v[62:63]
	v_mul_f64 v[62:63], v[22:23], v[62:63]
	v_fma_f64 v[4:5], v[4:5], v[32:33], v[126:127]
	v_fma_f64 v[6:7], v[6:7], v[36:37], v[128:129]
	;; [unrolled: 1-line block ×4, first 2 shown]
	v_fma_f64 v[32:33], v[68:69], v[32:33], -v[34:35]
	v_fma_f64 v[34:35], v[70:71], v[36:37], -v[38:39]
	;; [unrolled: 1-line block ×3, first 2 shown]
	v_fma_f64 v[2:3], v[2:3], v[24:25], v[124:125]
	v_fma_f64 v[24:25], v[66:67], v[24:25], -v[26:27]
	v_fma_f64 v[12:13], v[12:13], v[40:41], v[184:185]
	v_fma_f64 v[36:37], v[107:108], v[40:41], -v[42:43]
	v_fma_f64 v[42:43], v[72:73], v[28:29], -v[198:199]
	v_fma_f64 v[10:11], v[10:11], v[44:45], v[182:183]
	v_fma_f64 v[40:41], v[74:75], v[44:45], -v[46:47]
	v_fma_f64 v[14:15], v[14:15], v[48:49], v[186:187]
	;; [unrolled: 2-line block ×6, first 2 shown]
	v_fma_f64 v[46:47], v[122:123], v[60:61], -v[62:63]
	v_and_or_b32 v128, 0x1f8, v86, v91
	ds_load_b64 v[91:92], v77
	ds_load_b64 v[77:78], v78
	ds_load_b64 v[101:102], v148
	ds_load_b64 v[105:106], v144
	ds_load_b64 v[124:125], v145
	ds_load_b64 v[126:127], v143
	ds_load_b64 v[48:49], v140
	ds_load_b64 v[50:51], v141
	ds_load_b64 v[52:53], v142
	ds_load_b64 v[54:55], v136
	ds_load_b64 v[56:57], v76
	ds_load_b64 v[58:59], v137
	v_and_or_b32 v76, 0x3f8, v80, v99
	v_lshl_add_u32 v129, v79, 3, 0
	v_and_or_b32 v99, 0x7f8, v85, v99
	v_lshl_add_u32 v128, v128, 3, 0
	s_waitcnt lgkmcnt(0)
	s_barrier
	buffer_gl0_inv
	v_add_f64 v[4:5], v[157:158], -v[4:5]
	v_add_f64 v[6:7], v[159:160], -v[6:7]
	;; [unrolled: 1-line block ×24, first 2 shown]
	v_fma_f64 v[40:41], v[157:158], 2.0, -v[4:5]
	v_fma_f64 v[42:43], v[159:160], 2.0, -v[6:7]
	;; [unrolled: 1-line block ×4, first 2 shown]
	v_lshl_add_u32 v160, v87, 3, 0
	v_lshl_add_u32 v161, v88, 3, 0
	v_fma_f64 v[87:88], v[101:102], 2.0, -v[38:39]
	v_fma_f64 v[26:27], v[155:156], 2.0, -v[2:3]
	v_lshl_add_u32 v151, v89, 3, 0
	v_lshl_add_u32 v162, v90, 3, 0
	v_fma_f64 v[89:90], v[105:106], 2.0, -v[60:61]
	v_lshl_add_u32 v156, v94, 3, 0
	v_lshl_add_u32 v157, v93, 3, 0
	v_fma_f64 v[93:94], v[124:125], 2.0, -v[32:33]
	v_lshl_add_u32 v158, v95, 3, 0
	v_fma_f64 v[95:96], v[126:127], 2.0, -v[34:35]
	v_fma_f64 v[48:49], v[48:49], 2.0, -v[62:63]
	;; [unrolled: 1-line block ×15, first 2 shown]
	v_lshl_add_u32 v155, v76, 3, 0
	v_fma_f64 v[76:77], v[77:78], 2.0, -v[74:75]
	v_lshl_add_u32 v150, v103, 3, 0
	v_lshl_add_u32 v159, v99, 3, 0
	ds_store_2addr_b64 v129, v[24:25], v[0:1] offset1:4
	ds_store_2addr_b64 v150, v[26:27], v[2:3] offset1:4
	;; [unrolled: 1-line block ×12, first 2 shown]
	s_waitcnt lgkmcnt(0)
	s_barrier
	buffer_gl0_inv
	ds_load_b64 v[109:110], v148
	ds_load_2addr_b64 v[0:3], v147 offset0:177 offset1:240
	ds_load_2addr_b64 v[64:67], v154 offset0:55 offset1:118
	ds_load_b64 v[107:108], v143
	ds_load_b64 v[105:106], v140
	;; [unrolled: 1-line block ×8, first 2 shown]
	ds_load_b64 v[120:121], v148 offset:11592
	ds_load_2addr_b64 v[52:55], v149 offset0:47 offset1:110
	ds_load_2addr_b64 v[44:47], v154 offset0:181 offset1:244
	;; [unrolled: 1-line block ×5, first 2 shown]
	s_waitcnt lgkmcnt(0)
	s_barrier
	buffer_gl0_inv
	ds_store_2addr_b64 v129, v[87:88], v[38:39] offset1:4
	ds_store_2addr_b64 v150, v[89:90], v[60:61] offset1:4
	;; [unrolled: 1-line block ×12, first 2 shown]
	s_waitcnt lgkmcnt(0)
	s_barrier
	buffer_gl0_inv
	global_load_b128 v[76:79], v97, s[4:5] offset:96
	v_and_b32_e32 v125, 7, v133
	v_and_b32_e32 v151, 7, v164
	global_load_b128 v[82:85], v97, s[4:5] offset:112
	v_and_b32_e32 v128, 7, v165
	v_and_b32_e32 v129, 7, v131
	v_lshlrev_b32_e32 v8, 5, v125
	v_lshlrev_b32_e32 v48, 5, v151
	v_and_b32_e32 v126, 7, v134
	v_and_b32_e32 v127, 7, v135
	v_lshlrev_b32_e32 v16, 5, v128
	s_clause 0x1
	global_load_b128 v[90:93], v8, s[4:5] offset:96
	global_load_b128 v[86:89], v48, s[4:5] offset:96
	v_lshlrev_b32_e32 v17, 5, v129
	v_lshlrev_b32_e32 v49, 5, v126
	;; [unrolled: 1-line block ×3, first 2 shown]
	s_clause 0x7
	global_load_b128 v[8:11], v8, s[4:5] offset:112
	global_load_b128 v[20:23], v16, s[4:5] offset:96
	;; [unrolled: 1-line block ×8, first 2 shown]
	v_and_b32_e32 v124, 7, v130
	v_lshrrev_b32_e32 v172, 3, v165
	v_lshrrev_b32_e32 v173, 3, v131
	;; [unrolled: 1-line block ×4, first 2 shown]
	v_lshlrev_b32_e32 v72, 5, v124
	s_clause 0x3
	global_load_b128 v[56:59], v49, s[4:5] offset:112
	global_load_b128 v[48:51], v50, s[4:5] offset:112
	;; [unrolled: 1-line block ×4, first 2 shown]
	ds_load_2addr_b64 v[155:158], v154 offset0:55 offset1:118
	ds_load_b64 v[178:179], v137
	v_mul_lo_u32 v206, v172, 24
	v_mul_lo_u32 v207, v173, 24
	ds_load_2addr_b64 v[166:169], v147 offset0:51 offset1:114
	v_mul_lo_u32 v174, v170, 24
	v_mul_lo_u32 v175, v171, 24
	ds_load_2addr_b64 v[170:173], v147 offset0:177 offset1:240
	ds_load_2addr_b64 v[94:97], v154 offset0:181 offset1:244
	ds_load_2addr_b64 v[159:162], v149 offset0:173 offset1:236
	v_or_b32_e32 v206, v206, v128
	v_or_b32_e32 v207, v207, v129
	ds_load_b64 v[128:129], v148 offset:11592
	ds_load_b64 v[186:187], v136
	v_or_b32_e32 v111, v174, v111
	v_or_b32_e32 v125, v175, v125
	ds_load_2addr_b64 v[174:177], v153 offset0:43 offset1:106
	v_and_b32_e32 v150, 0xff, v133
	v_or_b32_e32 v151, v163, v151
	v_mul_lo_u32 v163, v202, 24
	v_or_b32_e32 v127, v208, v127
	v_or_b32_e32 v124, v204, v124
	s_delay_alu instid0(VALU_DEP_4) | instskip(NEXT) | instid1(VALU_DEP_2)
	v_lshl_add_u32 v151, v151, 3, 0
	v_lshl_add_u32 v204, v124, 3, 0
	v_or_b32_e32 v126, v163, v126
	v_and_b32_e32 v163, 0xff, v164
	s_waitcnt vmcnt(15) lgkmcnt(8)
	v_mul_f64 v[180:181], v[155:156], v[78:79]
	v_mul_f64 v[182:183], v[64:65], v[78:79]
	ds_load_2addr_b64 v[78:81], v149 offset0:47 offset1:110
	s_waitcnt vmcnt(13)
	v_mul_f64 v[184:185], v[157:158], v[92:93]
	s_waitcnt vmcnt(12) lgkmcnt(8)
	v_mul_f64 v[188:189], v[178:179], v[88:89]
	v_mul_f64 v[88:89], v[122:123], v[88:89]
	;; [unrolled: 1-line block ×3, first 2 shown]
	s_waitcnt vmcnt(7) lgkmcnt(4)
	v_mul_f64 v[200:201], v[161:162], v[30:31]
	v_mul_f64 v[194:195], v[94:95], v[22:23]
	;; [unrolled: 1-line block ×7, first 2 shown]
	s_waitcnt lgkmcnt(0)
	v_mul_f64 v[190:191], v[78:79], v[84:85]
	v_mul_f64 v[84:85], v[52:53], v[84:85]
	;; [unrolled: 1-line block ×5, first 2 shown]
	v_fma_f64 v[64:65], v[64:65], v[76:77], v[180:181]
	v_fma_f64 v[76:77], v[155:156], v[76:77], -v[182:183]
	s_waitcnt vmcnt(6)
	v_mul_f64 v[155:156], v[166:167], v[34:35]
	s_waitcnt vmcnt(4)
	v_mul_f64 v[182:183], v[172:173], v[70:71]
	v_mul_f64 v[70:71], v[2:3], v[70:71]
	;; [unrolled: 1-line block ×5, first 2 shown]
	v_fma_f64 v[66:67], v[66:67], v[90:91], v[184:185]
	v_fma_f64 v[122:123], v[122:123], v[86:87], v[188:189]
	v_fma_f64 v[86:87], v[178:179], v[86:87], -v[88:89]
	s_waitcnt vmcnt(3)
	v_mul_f64 v[88:89], v[174:175], v[58:59]
	v_mul_f64 v[58:59], v[4:5], v[58:59]
	s_waitcnt vmcnt(2)
	v_mul_f64 v[178:179], v[176:177], v[50:51]
	v_mul_f64 v[50:51], v[6:7], v[50:51]
	v_fma_f64 v[90:91], v[157:158], v[90:91], -v[92:93]
	v_fma_f64 v[46:47], v[46:47], v[12:13], v[196:197]
	v_fma_f64 v[42:43], v[42:43], v[28:29], v[200:201]
	;; [unrolled: 1-line block ×4, first 2 shown]
	v_fma_f64 v[78:79], v[78:79], v[82:83], -v[84:85]
	s_waitcnt vmcnt(1)
	v_mul_f64 v[82:83], v[170:171], v[62:63]
	s_waitcnt vmcnt(0)
	v_mul_f64 v[84:85], v[128:129], v[74:75]
	v_mul_f64 v[62:63], v[0:1], v[62:63]
	;; [unrolled: 1-line block ×3, first 2 shown]
	v_fma_f64 v[54:55], v[54:55], v[8:9], v[192:193]
	v_fma_f64 v[8:9], v[80:81], v[8:9], -v[10:11]
	v_fma_f64 v[40:41], v[40:41], v[36:37], v[198:199]
	v_fma_f64 v[10:11], v[94:95], v[20:21], -v[22:23]
	v_fma_f64 v[20:21], v[159:160], v[36:37], -v[38:39]
	v_fma_f64 v[12:13], v[96:97], v[12:13], -v[14:15]
	v_fma_f64 v[14:15], v[161:162], v[28:29], -v[30:31]
	ds_load_b64 v[92:93], v145
	ds_load_b64 v[184:185], v144
	;; [unrolled: 1-line block ×3, first 2 shown]
	v_lshrrev_b16 v157, 12, v205
	v_lshl_add_u32 v197, v125, 3, 0
	v_add_f64 v[80:81], v[118:119], v[64:65]
	v_lshl_add_u32 v200, v126, 3, 0
	v_fma_f64 v[24:25], v[24:25], v[32:33], v[155:156]
	v_mul_lo_u16 v155, 0xab, v150
	v_fma_f64 v[2:3], v[2:3], v[68:69], v[182:183]
	v_fma_f64 v[68:69], v[172:173], v[68:69], -v[70:71]
	v_fma_f64 v[22:23], v[166:167], v[32:33], -v[34:35]
	v_fma_f64 v[26:27], v[26:27], v[16:17], v[180:181]
	v_lshrrev_b16 v158, 12, v155
	v_fma_f64 v[16:17], v[168:169], v[16:17], -v[18:19]
	v_mul_lo_u16 v155, v157, 24
	v_add_f64 v[94:95], v[116:117], v[66:67]
	v_lshl_add_u32 v201, v127, 3, 0
	v_mul_lo_u16 v156, v158, 24
	v_fma_f64 v[4:5], v[4:5], v[56:57], v[88:89]
	v_fma_f64 v[28:29], v[174:175], v[56:57], -v[58:59]
	v_fma_f64 v[6:7], v[6:7], v[48:49], v[178:179]
	v_fma_f64 v[18:19], v[176:177], v[48:49], -v[50:51]
	v_sub_nc_u16 v30, v133, v156
	v_sub_nc_u16 v88, v132, v155
	ds_load_b64 v[34:35], v143
	ds_load_b64 v[36:37], v140
	;; [unrolled: 1-line block ×4, first 2 shown]
	v_add_f64 v[124:125], v[107:108], v[44:45]
	v_add_f64 v[56:57], v[64:65], v[52:53]
	v_and_b32_e32 v156, 0xff, v30
	v_fma_f64 v[0:1], v[0:1], v[60:61], v[82:83]
	v_fma_f64 v[70:71], v[120:121], v[72:73], v[84:85]
	v_fma_f64 v[30:31], v[170:171], v[60:61], -v[62:63]
	v_fma_f64 v[32:33], v[128:129], v[72:73], -v[74:75]
	v_add_f64 v[60:61], v[109:110], v[122:123]
	v_add_f64 v[74:75], v[46:47], v[42:43]
	;; [unrolled: 1-line block ×8, first 2 shown]
	v_and_b32_e32 v155, 0xff, v88
	v_add_f64 v[84:85], v[76:77], -v[78:79]
	v_add_f64 v[128:129], v[105:106], v[46:47]
	s_waitcnt lgkmcnt(5)
	v_add_f64 v[76:77], v[184:185], v[76:77]
	v_add_f64 v[159:160], v[12:13], -v[14:15]
	v_add_f64 v[161:162], v[103:104], v[24:25]
	v_add_f64 v[50:51], v[122:123], v[2:3]
	;; [unrolled: 1-line block ×3, first 2 shown]
	v_add_f64 v[72:73], v[86:87], -v[68:69]
	s_waitcnt lgkmcnt(4)
	v_add_f64 v[86:87], v[202:203], v[86:87]
	v_add_f64 v[122:123], v[122:123], -v[2:3]
	v_add_f64 v[64:65], v[64:65], -v[52:53]
	v_add_f64 v[52:53], v[80:81], v[52:53]
	v_add_f64 v[120:121], v[90:91], -v[8:9]
	v_add_f64 v[66:67], v[66:67], -v[54:55]
	v_add_f64 v[90:91], v[92:93], v[90:91]
	v_add_f64 v[82:83], v[24:25], v[4:5]
	;; [unrolled: 1-line block ×5, first 2 shown]
	v_add_f64 v[126:127], v[10:11], -v[20:21]
	v_add_f64 v[44:45], v[44:45], -v[40:41]
	s_waitcnt lgkmcnt(3)
	v_add_f64 v[10:11], v[34:35], v[10:11]
	v_add_f64 v[166:167], v[22:23], -v[28:29]
	v_fma_f64 v[56:57], v[56:57], -0.5, v[118:119]
	v_add_f64 v[46:47], v[46:47], -v[42:43]
	s_waitcnt lgkmcnt(2)
	v_add_f64 v[12:13], v[36:37], v[12:13]
	v_add_f64 v[96:97], v[0:1], v[70:71]
	v_add_f64 v[24:25], v[24:25], -v[4:5]
	v_add_f64 v[194:195], v[30:31], v[32:33]
	v_add_f64 v[2:3], v[60:61], v[2:3]
	v_fma_f64 v[74:75], v[74:75], -0.5, v[105:106]
	v_fma_f64 v[80:81], v[172:173], -0.5, v[184:185]
	;; [unrolled: 1-line block ×7, first 2 shown]
	s_waitcnt lgkmcnt(1)
	v_add_f64 v[22:23], v[38:39], v[22:23]
	v_add_f64 v[170:171], v[98:99], v[26:27]
	v_add_f64 v[174:175], v[16:17], -v[18:19]
	v_add_f64 v[26:27], v[26:27], -v[6:7]
	s_waitcnt lgkmcnt(0)
	v_add_f64 v[16:17], v[48:49], v[16:17]
	v_add_f64 v[178:179], v[101:102], v[0:1]
	v_fma_f64 v[50:51], v[50:51], -0.5, v[109:110]
	v_fma_f64 v[60:61], v[168:169], -0.5, v[202:203]
	v_add_f64 v[182:183], v[30:31], -v[32:33]
	v_add_f64 v[0:1], v[0:1], -v[70:71]
	v_add_f64 v[30:31], v[186:187], v[30:31]
	v_add_f64 v[68:69], v[86:87], v[68:69]
	;; [unrolled: 1-line block ×6, first 2 shown]
	v_fma_f64 v[82:83], v[82:83], -0.5, v[103:104]
	v_fma_f64 v[38:39], v[190:191], -0.5, v[38:39]
	;; [unrolled: 1-line block ×4, first 2 shown]
	v_add_f64 v[90:91], v[90:91], v[8:9]
	v_add_f64 v[40:41], v[124:125], v[40:41]
	;; [unrolled: 1-line block ×3, first 2 shown]
	v_lshl_add_u32 v198, v206, 3, 0
	v_lshlrev_b32_e32 v205, 5, v155
	v_lshlrev_b32_e32 v206, 5, v156
	v_lshl_add_u32 v196, v111, 3, 0
	v_fma_f64 v[96:97], v[96:97], -0.5, v[101:102]
	v_lshl_add_u32 v199, v207, 3, 0
	v_fma_f64 v[86:87], v[194:195], -0.5, v[186:187]
	v_fma_f64 v[98:99], v[159:160], s[6:7], v[74:75]
	v_fma_f64 v[74:75], v[159:160], s[8:9], v[74:75]
	;; [unrolled: 1-line block ×10, first 2 shown]
	v_add_f64 v[126:127], v[12:13], v[14:15]
	v_add_f64 v[22:23], v[22:23], v[28:29]
	;; [unrolled: 1-line block ×3, first 2 shown]
	v_fma_f64 v[78:79], v[72:73], s[6:7], v[50:51]
	v_fma_f64 v[128:129], v[122:123], s[8:9], v[60:61]
	;; [unrolled: 1-line block ×8, first 2 shown]
	v_add_f64 v[28:29], v[16:17], v[18:19]
	v_add_f64 v[70:71], v[178:179], v[70:71]
	v_fma_f64 v[101:102], v[166:167], s[6:7], v[82:83]
	v_fma_f64 v[82:83], v[166:167], s[8:9], v[82:83]
	;; [unrolled: 1-line block ×10, first 2 shown]
	v_add_f64 v[30:31], v[30:31], v[32:33]
	v_fma_f64 v[105:106], v[182:183], s[6:7], v[96:97]
	v_fma_f64 v[96:97], v[182:183], s[8:9], v[96:97]
	;; [unrolled: 1-line block ×4, first 2 shown]
	s_barrier
	buffer_gl0_inv
	ds_store_2addr_b64 v151, v[2:3], v[78:79] offset1:8
	ds_store_b64 v151, v[50:51] offset:128
	ds_store_2addr_b64 v196, v[52:53], v[72:73] offset1:8
	ds_store_b64 v196, v[56:57] offset:128
	;; [unrolled: 2-line block ×8, first 2 shown]
	s_waitcnt lgkmcnt(0)
	s_barrier
	buffer_gl0_inv
	ds_load_b64 v[116:117], v148
	ds_load_b64 v[110:111], v143
	;; [unrolled: 1-line block ×9, first 2 shown]
	ds_load_b64 v[122:123], v148 offset:11592
	ds_load_2addr_b64 v[0:3], v147 offset0:177 offset1:240
	ds_load_2addr_b64 v[60:63], v154 offset0:55 offset1:118
	;; [unrolled: 1-line block ×7, first 2 shown]
	s_waitcnt lgkmcnt(0)
	s_barrier
	buffer_gl0_inv
	ds_store_2addr_b64 v151, v[68:69], v[128:129] offset1:8
	ds_store_b64 v151, v[159:160] offset:128
	ds_store_2addr_b64 v196, v[76:77], v[161:162] offset1:8
	ds_store_b64 v196, v[64:65] offset:128
	;; [unrolled: 2-line block ×8, first 2 shown]
	s_waitcnt lgkmcnt(0)
	s_barrier
	buffer_gl0_inv
	s_clause 0x2
	global_load_b128 v[88:91], v205, s[4:5] offset:352
	global_load_b128 v[84:87], v206, s[4:5] offset:352
	;; [unrolled: 1-line block ×3, first 2 shown]
	v_and_b32_e32 v177, 0xff, v165
	v_mul_lo_u16 v20, 0xab, v163
	v_and_b32_e32 v176, 0xffff, v131
	v_and_b32_e32 v175, 0xffff, v134
	v_and_b32_e32 v173, 0xffff, v135
	v_mul_lo_u16 v21, 0xab, v177
	v_lshrrev_b16 v169, 12, v20
	v_mul_u32_u24_e32 v22, 0xaaab, v176
	global_load_b128 v[72:75], v206, s[4:5] offset:368
	v_and_b32_e32 v151, 0xffff, v130
	v_lshrrev_b16 v168, 12, v21
	v_mul_lo_u16 v20, v169, 24
	v_mul_u32_u24_e32 v21, 0xaaab, v175
	v_lshrrev_b32_e32 v170, 20, v22
	v_mul_u32_u24_e32 v22, 0xaaab, v173
	v_mul_lo_u16 v23, v168, 24
	v_sub_nc_u16 v20, v164, v20
	v_lshrrev_b32_e32 v171, 20, v21
	v_mul_lo_u16 v24, v170, 24
	v_lshrrev_b32_e32 v172, 20, v22
	v_sub_nc_u16 v21, v165, v23
	v_and_b32_e32 v160, 0xff, v20
	v_mul_lo_u16 v20, v171, 24
	v_sub_nc_u16 v22, v131, v24
	v_mul_lo_u16 v23, v172, 24
	v_and_b32_e32 v161, 0xff, v21
	v_lshlrev_b32_e32 v56, 5, v160
	v_sub_nc_u16 v20, v134, v20
	v_and_b32_e32 v162, 0xffff, v22
	v_sub_nc_u16 v21, v135, v23
	v_lshlrev_b32_e32 v24, 5, v161
	global_load_b128 v[76:79], v56, s[4:5] offset:352
	v_and_b32_e32 v163, 0xffff, v20
	v_lshlrev_b32_e32 v25, 5, v162
	v_and_b32_e32 v166, 0xffff, v21
	s_clause 0x1
	global_load_b128 v[28:31], v24, s[4:5] offset:352
	global_load_b128 v[20:23], v25, s[4:5] offset:352
	v_lshlrev_b32_e32 v48, 5, v163
	v_lshlrev_b32_e32 v49, 5, v166
	s_clause 0x3
	global_load_b128 v[44:47], v24, s[4:5] offset:368
	global_load_b128 v[36:39], v25, s[4:5] offset:368
	;; [unrolled: 1-line block ×4, first 2 shown]
	v_mul_u32_u24_e32 v57, 0xaaab, v151
	s_clause 0x2
	global_load_b128 v[52:55], v48, s[4:5] offset:368
	global_load_b128 v[48:51], v49, s[4:5] offset:368
	;; [unrolled: 1-line block ×3, first 2 shown]
	v_mul_lo_u16 v190, v177, 57
	v_mul_u32_u24_e32 v204, 0xe38f, v176
	v_lshrrev_b32_e32 v174, 20, v57
	v_mul_u32_u24_e32 v207, 0xe38f, v173
	v_and_b32_e32 v211, 0xffff, v168
	v_lshrrev_b16 v173, 12, v190
	v_and_b32_e32 v210, 0xffff, v158
	v_mul_lo_u16 v56, v174, 24
	v_mul_u32_u24_e32 v206, 0xe38f, v175
	v_lshrrev_b32_e32 v175, 22, v204
	v_add_nc_u32_e32 v159, -9, v164
	v_mul_lo_u16 v150, v150, 57
	v_sub_nc_u16 v56, v130, v56
	v_mov_b32_e32 v101, 0
	v_mul_u32_u24_e32 v212, 0x240, v170
	v_cndmask_b32_e64 v159, v159, v132, s0
	v_lshrrev_b16 v150, 12, v150
	v_and_b32_e32 v167, 0xffff, v56
	v_mul_u32_u24_e32 v213, 0x240, v171
	v_mul_u32_u24_e32 v172, 0x240, v172
	;; [unrolled: 1-line block ×3, first 2 shown]
	s_delay_alu instid0(VALU_DEP_4)
	v_lshlrev_b32_e32 v64, 5, v167
	s_clause 0x1
	global_load_b128 v[56:59], v64, s[4:5] offset:352
	global_load_b128 v[64:67], v64, s[4:5] offset:368
	ds_load_2addr_b64 v[96:99], v154 offset0:55 offset1:118
	ds_load_2addr_b64 v[92:95], v149 offset0:47 offset1:110
	;; [unrolled: 1-line block ×3, first 2 shown]
	ds_load_b64 v[198:199], v137
	ds_load_2addr_b64 v[178:181], v154 offset0:181 offset1:244
	ds_load_2addr_b64 v[186:189], v147 offset0:51 offset1:114
	;; [unrolled: 1-line block ×3, first 2 shown]
	ds_load_b64 v[200:201], v136
	s_waitcnt vmcnt(15) lgkmcnt(7)
	v_mul_f64 v[126:127], v[96:97], v[90:91]
	v_mul_f64 v[128:129], v[60:61], v[90:91]
	s_waitcnt vmcnt(14)
	v_mul_f64 v[90:91], v[98:99], v[86:87]
	v_mul_f64 v[86:87], v[62:63], v[86:87]
	s_waitcnt vmcnt(13) lgkmcnt(6)
	v_mul_f64 v[194:195], v[92:93], v[82:83]
	v_mul_f64 v[196:197], v[32:33], v[82:83]
	v_lshlrev_b64 v[82:83], 4, v[100:101]
	v_lshlrev_b32_e32 v100, 1, v159
	s_waitcnt vmcnt(12)
	v_mul_f64 v[176:177], v[94:95], v[74:75]
	v_mul_f64 v[74:75], v[34:35], v[74:75]
	s_delay_alu instid0(VALU_DEP_3)
	v_lshlrev_b64 v[100:101], 4, v[100:101]
	s_waitcnt vmcnt(11) lgkmcnt(4)
	v_mul_f64 v[202:203], v[198:199], v[78:79]
	v_mul_f64 v[78:79], v[124:125], v[78:79]
	v_fma_f64 v[126:127], v[60:61], v[88:89], v[126:127]
	v_fma_f64 v[96:97], v[96:97], v[88:89], -v[128:129]
	v_fma_f64 v[62:63], v[62:63], v[84:85], v[90:91]
	v_fma_f64 v[84:85], v[98:99], v[84:85], -v[86:87]
	s_waitcnt vmcnt(8)
	v_mul_f64 v[86:87], v[182:183], v[46:47]
	s_waitcnt vmcnt(7)
	v_mul_f64 v[98:99], v[184:185], v[38:39]
	ds_load_2addr_b64 v[88:91], v147 offset0:177 offset1:240
	v_fma_f64 v[32:33], v[32:33], v[80:81], v[194:195]
	v_fma_f64 v[80:81], v[92:93], v[80:81], -v[196:197]
	v_and_b32_e32 v196, 0xffff, v169
	v_and_b32_e32 v197, 0xffff, v157
	v_fma_f64 v[34:35], v[34:35], v[72:73], v[176:177]
	v_fma_f64 v[72:73], v[94:95], v[72:73], -v[74:75]
	ds_load_b64 v[74:75], v148 offset:11592
	ds_load_b64 v[94:95], v145
	ds_load_b64 v[168:169], v144
	s_waitcnt lgkmcnt(7)
	v_mul_f64 v[128:129], v[178:179], v[30:31]
	v_mul_f64 v[30:31], v[16:17], v[30:31]
	;; [unrolled: 1-line block ×6, first 2 shown]
	v_lshrrev_b32_e32 v61, 22, v206
	v_lshrrev_b32_e32 v60, 22, v207
	s_waitcnt vmcnt(6) lgkmcnt(6)
	v_mul_f64 v[206:207], v[186:187], v[42:43]
	s_waitcnt vmcnt(4) lgkmcnt(5)
	v_mul_f64 v[92:93], v[190:191], v[54:55]
	v_mul_f64 v[42:43], v[8:9], v[42:43]
	;; [unrolled: 1-line block ×3, first 2 shown]
	s_waitcnt vmcnt(2) lgkmcnt(3)
	v_mul_f64 v[157:158], v[90:91], v[70:71]
	v_mul_f64 v[70:71], v[2:3], v[70:71]
	;; [unrolled: 1-line block ×6, first 2 shown]
	ds_load_b64 v[170:171], v148
	v_mul_lo_u16 v176, 0x48, v150
	v_fma_f64 v[124:125], v[124:125], v[76:77], v[202:203]
	v_fma_f64 v[76:77], v[198:199], v[76:77], -v[78:79]
	v_mul_lo_u16 v177, 0x48, v175
	v_fma_f64 v[12:13], v[12:13], v[44:45], v[86:87]
	v_fma_f64 v[14:15], v[14:15], v[36:37], v[98:99]
	s_waitcnt vmcnt(1)
	v_mul_f64 v[86:87], v[88:89], v[58:59]
	s_waitcnt vmcnt(0) lgkmcnt(3)
	v_mul_f64 v[98:99], v[74:75], v[66:67]
	v_mul_f64 v[58:59], v[0:1], v[58:59]
	;; [unrolled: 1-line block ×3, first 2 shown]
	v_fma_f64 v[16:17], v[16:17], v[28:29], v[128:129]
	v_fma_f64 v[28:29], v[178:179], v[28:29], -v[30:31]
	v_fma_f64 v[30:31], v[182:183], v[44:45], -v[46:47]
	v_fma_f64 v[18:19], v[18:19], v[20:21], v[204:205]
	v_fma_f64 v[20:21], v[180:181], v[20:21], -v[22:23]
	v_fma_f64 v[22:23], v[184:185], v[36:37], -v[38:39]
	v_add_f64 v[184:185], v[96:97], v[80:81]
	v_fma_f64 v[78:79], v[8:9], v[40:41], v[206:207]
	v_fma_f64 v[92:93], v[4:5], v[52:53], v[92:93]
	v_fma_f64 v[36:37], v[186:187], v[40:41], -v[42:43]
	v_fma_f64 v[38:39], v[190:191], v[52:53], -v[54:55]
	v_fma_f64 v[2:3], v[2:3], v[68:69], v[157:158]
	v_fma_f64 v[68:69], v[90:91], v[68:69], -v[70:71]
	v_fma_f64 v[9:10], v[10:11], v[24:25], v[208:209]
	v_fma_f64 v[128:129], v[6:7], v[48:49], v[194:195]
	v_fma_f64 v[24:25], v[188:189], v[24:25], -v[26:27]
	v_fma_f64 v[26:27], v[192:193], v[48:49], -v[50:51]
	v_mul_lo_u16 v5, 0x48, v61
	v_mul_lo_u16 v7, 0x48, v60
	;; [unrolled: 1-line block ×3, first 2 shown]
	v_sub_nc_u16 v8, v133, v176
	v_add_f64 v[54:55], v[126:127], v[32:33]
	v_sub_nc_u16 v90, v134, v5
	v_sub_nc_u16 v91, v135, v7
	v_add_f64 v[188:189], v[84:85], v[72:73]
	v_sub_nc_u16 v6, v131, v177
	v_mul_u32_u24_e32 v11, 0x240, v196
	v_mul_u32_u24_e32 v131, 0x240, v197
	v_sub_nc_u16 v176, v165, v4
	v_fma_f64 v[0:1], v[0:1], v[56:57], v[86:87]
	v_fma_f64 v[86:87], v[122:123], v[64:65], v[98:99]
	v_fma_f64 v[40:41], v[88:89], v[56:57], -v[58:59]
	v_fma_f64 v[42:43], v[74:75], v[64:65], -v[66:67]
	v_add_f64 v[58:59], v[116:117], v[124:125]
	v_add_f64 v[88:89], v[120:121], v[126:127]
	;; [unrolled: 1-line block ×3, first 2 shown]
	v_add_co_u32 v70, s0, s4, v100
	v_and_b32_e32 v4, 0xff, v8
	v_and_b32_e32 v7, 0xffff, v90
	;; [unrolled: 1-line block ×3, first 2 shown]
	v_lshlrev_b32_e32 v90, 3, v160
	v_lshlrev_b32_e32 v91, 3, v155
	v_add_f64 v[64:65], v[16:17], v[12:13]
	v_add_f64 v[192:193], v[28:29], v[30:31]
	v_mul_u32_u24_e32 v177, 0x240, v210
	v_mul_u32_u24_e32 v194, 0x240, v211
	v_add_co_ci_u32_e64 v71, s0, s5, v101, s0
	v_add_f64 v[52:53], v[124:125], v[2:3]
	v_add_f64 v[180:181], v[76:77], v[68:69]
	v_lshlrev_b32_e32 v100, 3, v156
	v_lshlrev_b32_e32 v101, 3, v161
	v_add_f64 v[74:75], v[18:19], v[14:15]
	v_add_f64 v[196:197], v[20:21], v[22:23]
	v_lshlrev_b32_e32 v134, 3, v162
	v_lshlrev_b32_e32 v135, 3, v163
	v_add3_u32 v216, 0, v11, v90
	v_add3_u32 v131, 0, v131, v91
	v_add_f64 v[90:91], v[78:79], v[92:93]
	v_add_f64 v[198:199], v[36:37], v[38:39]
	v_add3_u32 v217, 0, v177, v100
	v_add3_u32 v218, 0, v194, v101
	v_add_f64 v[100:101], v[9:10], v[128:129]
	v_add_f64 v[202:203], v[24:25], v[26:27]
	v_add3_u32 v219, 0, v212, v134
	v_add3_u32 v220, 0, v213, v135
	v_add_f64 v[66:67], v[76:77], -v[68:69]
	v_add_f64 v[134:135], v[0:1], v[86:87]
	s_waitcnt lgkmcnt(0)
	v_add_f64 v[76:77], v[170:171], v[76:77]
	v_add_f64 v[204:205], v[40:41], v[42:43]
	ds_load_b64 v[44:45], v143
	ds_load_b64 v[46:47], v140
	;; [unrolled: 1-line block ×4, first 2 shown]
	v_lshlrev_b32_e32 v155, 3, v166
	v_lshlrev_b32_e32 v156, 3, v167
	v_add_f64 v[98:99], v[96:97], -v[80:81]
	v_add_f64 v[194:195], v[40:41], -v[42:43]
	v_add_f64 v[124:125], v[124:125], -v[2:3]
	v_add_f64 v[96:97], v[168:169], v[96:97]
	v_add_f64 v[40:41], v[200:201], v[40:41]
	;; [unrolled: 1-line block ×4, first 2 shown]
	v_add_f64 v[126:127], v[126:127], -v[32:33]
	v_fma_f64 v[54:55], v[54:55], -0.5, v[120:121]
	v_add_f64 v[32:33], v[88:89], v[32:33]
	v_fma_f64 v[88:89], v[184:185], -0.5, v[168:169]
	v_add3_u32 v172, 0, v172, v155
	v_add3_u32 v174, 0, v174, v156
	v_fma_f64 v[52:53], v[52:53], -0.5, v[116:117]
	v_fma_f64 v[58:59], v[180:181], -0.5, v[170:171]
	v_add_f64 v[155:156], v[84:85], -v[72:73]
	v_add_f64 v[62:63], v[62:63], -v[34:35]
	v_add_f64 v[84:85], v[94:95], v[84:85]
	v_fma_f64 v[56:57], v[56:57], -0.5, v[118:119]
	v_fma_f64 v[94:95], v[188:189], -0.5, v[94:95]
	v_add_f64 v[157:158], v[110:111], v[16:17]
	v_add_f64 v[160:161], v[28:29], -v[30:31]
	v_add_f64 v[16:17], v[16:17], -v[12:13]
	v_fma_f64 v[64:65], v[64:65], -0.5, v[110:111]
	s_waitcnt lgkmcnt(3)
	v_add_f64 v[28:29], v[44:45], v[28:29]
	v_fma_f64 v[44:45], v[192:193], -0.5, v[44:45]
	v_add_f64 v[162:163], v[108:109], v[18:19]
	v_add_f64 v[166:167], v[20:21], -v[22:23]
	v_add_f64 v[18:19], v[18:19], -v[14:15]
	v_fma_f64 v[74:75], v[74:75], -0.5, v[108:109]
	s_waitcnt lgkmcnt(2)
	v_add_f64 v[20:21], v[46:47], v[20:21]
	v_fma_f64 v[46:47], v[196:197], -0.5, v[46:47]
	v_and_b32_e32 v5, 0xff, v176
	v_add_f64 v[176:177], v[106:107], v[78:79]
	v_add_f64 v[178:179], v[36:37], -v[38:39]
	v_add_f64 v[78:79], v[78:79], -v[92:93]
	v_fma_f64 v[90:91], v[90:91], -0.5, v[106:107]
	s_waitcnt lgkmcnt(1)
	v_add_f64 v[36:37], v[48:49], v[36:37]
	v_fma_f64 v[48:49], v[198:199], -0.5, v[48:49]
	v_add_f64 v[182:183], v[102:103], v[9:10]
	v_add_f64 v[186:187], v[24:25], -v[26:27]
	v_add_f64 v[9:10], v[9:10], -v[128:129]
	v_fma_f64 v[100:101], v[100:101], -0.5, v[102:103]
	s_waitcnt lgkmcnt(0)
	v_add_f64 v[24:25], v[50:51], v[24:25]
	v_fma_f64 v[50:51], v[202:203], -0.5, v[50:51]
	v_add_f64 v[190:191], v[104:105], v[0:1]
	v_add_f64 v[0:1], v[0:1], -v[86:87]
	v_fma_f64 v[102:103], v[134:135], -0.5, v[104:105]
	v_add_f64 v[68:69], v[76:77], v[68:69]
	v_fma_f64 v[76:77], v[204:205], -0.5, v[200:201]
	v_add_f64 v[80:81], v[96:97], v[80:81]
	v_fma_f64 v[96:97], v[66:67], s[6:7], v[52:53]
	v_add_f64 v[40:41], v[40:41], v[42:43]
	v_fma_f64 v[42:43], v[124:125], s[8:9], v[58:59]
	v_fma_f64 v[52:53], v[66:67], s[8:9], v[52:53]
	;; [unrolled: 1-line block ×3, first 2 shown]
	v_add_f64 v[34:35], v[122:123], v[34:35]
	v_fma_f64 v[66:67], v[98:99], s[6:7], v[54:55]
	v_fma_f64 v[122:123], v[126:127], s[8:9], v[88:89]
	;; [unrolled: 1-line block ×5, first 2 shown]
	v_add_f64 v[72:73], v[84:85], v[72:73]
	v_fma_f64 v[124:125], v[62:63], s[8:9], v[94:95]
	v_fma_f64 v[56:57], v[155:156], s[8:9], v[56:57]
	;; [unrolled: 1-line block ×3, first 2 shown]
	v_add_f64 v[11:12], v[157:158], v[12:13]
	v_fma_f64 v[106:107], v[160:161], s[6:7], v[64:65]
	v_add_f64 v[84:85], v[28:29], v[30:31]
	v_fma_f64 v[94:95], v[16:17], s[8:9], v[44:45]
	;; [unrolled: 2-line block ×3, first 2 shown]
	v_fma_f64 v[15:16], v[16:17], s[6:7], v[44:45]
	v_fma_f64 v[108:109], v[166:167], s[6:7], v[74:75]
	v_add_f64 v[120:121], v[20:21], v[22:23]
	v_fma_f64 v[44:45], v[18:19], s[8:9], v[46:47]
	v_fma_f64 v[74:75], v[166:167], s[8:9], v[74:75]
	v_fma_f64 v[46:47], v[18:19], s[6:7], v[46:47]
	v_add_f64 v[92:93], v[176:177], v[92:93]
	v_fma_f64 v[110:111], v[178:179], s[6:7], v[90:91]
	v_add_f64 v[36:37], v[36:37], v[38:39]
	v_fma_f64 v[126:127], v[78:79], s[8:9], v[48:49]
	v_fma_f64 v[90:91], v[178:179], s[8:9], v[90:91]
	v_fma_f64 v[78:79], v[78:79], s[6:7], v[48:49]
	v_add_f64 v[104:105], v[182:183], v[128:129]
	;; [unrolled: 6-line block ×3, first 2 shown]
	v_fma_f64 v[118:119], v[194:195], s[6:7], v[102:103]
	v_fma_f64 v[134:135], v[0:1], s[8:9], v[76:77]
	;; [unrolled: 1-line block ×4, first 2 shown]
	v_lshlrev_b32_e32 v214, 5, v4
	s_barrier
	buffer_gl0_inv
	ds_store_2addr_b64 v216, v[2:3], v[96:97] offset1:24
	ds_store_b64 v216, v[52:53] offset:384
	ds_store_2addr_b64 v131, v[32:33], v[66:67] offset1:24
	ds_store_b64 v131, v[54:55] offset:384
	;; [unrolled: 2-line block ×8, first 2 shown]
	s_waitcnt lgkmcnt(0)
	s_barrier
	buffer_gl0_inv
	ds_load_b64 v[170:171], v148
	ds_load_b64 v[200:201], v143
	;; [unrolled: 1-line block ×9, first 2 shown]
	ds_load_b64 v[100:101], v148 offset:11592
	ds_load_2addr_b64 v[0:3], v147 offset0:177 offset1:240
	ds_load_2addr_b64 v[18:21], v154 offset0:55 offset1:118
	;; [unrolled: 1-line block ×7, first 2 shown]
	s_waitcnt lgkmcnt(0)
	s_barrier
	buffer_gl0_inv
	ds_store_2addr_b64 v216, v[68:69], v[42:43] offset1:24
	ds_store_b64 v216, v[58:59] offset:384
	ds_store_2addr_b64 v131, v[80:81], v[122:123] offset1:24
	ds_store_b64 v131, v[88:89] offset:384
	;; [unrolled: 2-line block ×8, first 2 shown]
	s_waitcnt lgkmcnt(0)
	s_barrier
	buffer_gl0_inv
	s_clause 0x3
	global_load_b128 v[34:37], v[70:71], off offset:1120
	global_load_b128 v[56:59], v214, s[4:5] offset:1120
	global_load_b128 v[62:65], v[70:71], off offset:1136
	global_load_b128 v[78:81], v214, s[4:5] offset:1136
	v_and_b32_e32 v6, 0xffff, v6
	v_lshlrev_b32_e32 v215, 5, v5
	v_lshlrev_b32_e32 v15, 5, v7
	v_add_co_u32 v13, s0, s4, v82
	v_lshlrev_b32_e32 v16, 5, v8
	v_lshlrev_b32_e32 v9, 5, v6
	v_add_co_ci_u32_e64 v14, s0, s5, v83, s0
	s_clause 0x8
	global_load_b128 v[84:87], v215, s[4:5] offset:1120
	global_load_b128 v[88:91], v215, s[4:5] offset:1136
	;; [unrolled: 1-line block ×6, first 2 shown]
	global_load_b128 v[9:12], v[13:14], off offset:1136
	global_load_b128 v[124:127], v15, s[4:5] offset:1136
	global_load_b128 v[155:158], v16, s[4:5] offset:1136
	v_mul_u32_u24_e32 v15, 0xe38f, v151
	global_load_b128 v[96:99], v[13:14], off offset:1120
	v_cmp_lt_u32_e64 s0, 8, v164
	v_lshlrev_b32_e32 v4, 3, v4
	v_lshlrev_b32_e32 v5, 3, v5
	v_lshrrev_b32_e32 v15, 22, v15
	v_lshlrev_b32_e32 v6, 3, v6
	v_lshlrev_b32_e32 v7, 3, v7
	;; [unrolled: 1-line block ×3, first 2 shown]
	s_delay_alu instid0(VALU_DEP_4) | instskip(NEXT) | instid1(VALU_DEP_1)
	v_mul_lo_u16 v15, 0x48, v15
	v_sub_nc_u16 v13, v130, v15
	s_delay_alu instid0(VALU_DEP_1) | instskip(NEXT) | instid1(VALU_DEP_1)
	v_and_b32_e32 v172, 0xffff, v13
	v_lshlrev_b32_e32 v13, 5, v172
	s_clause 0x1
	global_load_b128 v[128:131], v13, s[4:5] offset:1120
	global_load_b128 v[160:163], v13, s[4:5] offset:1136
	ds_load_2addr_b64 v[166:169], v154 offset0:55 offset1:118
	ds_load_2addr_b64 v[176:179], v149 offset0:47 offset1:110
	;; [unrolled: 1-line block ×7, first 2 shown]
	ds_load_b64 v[102:103], v137
	s_waitcnt vmcnt(15) lgkmcnt(7)
	v_mul_f64 v[16:17], v[166:167], v[36:37]
	s_waitcnt vmcnt(14)
	v_mul_f64 v[38:39], v[168:169], v[58:59]
	s_waitcnt vmcnt(12) lgkmcnt(6)
	v_mul_f64 v[42:43], v[178:179], v[80:81]
	v_mul_f64 v[40:41], v[176:177], v[64:65]
	;; [unrolled: 1-line block ×5, first 2 shown]
	s_waitcnt vmcnt(11) lgkmcnt(5)
	v_mul_f64 v[44:45], v[180:181], v[86:87]
	s_waitcnt vmcnt(6) lgkmcnt(3)
	v_mul_f64 v[72:73], v[190:191], v[122:123]
	;; [unrolled: 2-line block ×3, first 2 shown]
	v_mul_f64 v[82:83], v[2:3], v[11:12]
	v_mul_f64 v[68:69], v[186:187], v[110:111]
	s_waitcnt vmcnt(4) lgkmcnt(1)
	v_mul_f64 v[94:95], v[196:197], v[126:127]
	ds_load_b64 v[12:13], v136
	ds_load_b64 v[14:15], v144
	v_mul_f64 v[136:137], v[18:19], v[36:37]
	v_mul_f64 v[46:47], v[182:183], v[106:107]
	;; [unrolled: 1-line block ×4, first 2 shown]
	s_waitcnt vmcnt(3)
	v_mul_f64 v[134:135], v[198:199], v[157:158]
	s_waitcnt vmcnt(2) lgkmcnt(2)
	v_mul_f64 v[216:217], v[102:103], v[98:99]
	v_cndmask_b32_e64 v11, 0, 0x6c0, s0
	v_cmp_gt_u32_e64 s0, 27, v164
	v_fma_f64 v[18:19], v[18:19], v[34:35], v[16:17]
	v_fma_f64 v[16:17], v[20:21], v[56:57], v[38:39]
	;; [unrolled: 1-line block ×3, first 2 shown]
	v_mul_f64 v[24:25], v[26:27], v[86:87]
	ds_load_b64 v[86:87], v148 offset:11592
	v_fma_f64 v[36:37], v[22:23], v[62:63], v[40:41]
	v_fma_f64 v[78:79], v[178:179], v[78:79], -v[80:81]
	v_fma_f64 v[38:39], v[26:27], v[84:85], v[44:45]
	v_fma_f64 v[44:45], v[50:51], v[120:121], v[72:73]
	ds_load_b64 v[72:73], v148
	v_fma_f64 v[92:93], v[2:3], v[9:10], v[76:77]
	v_fma_f64 v[40:41], v[194:195], v[9:10], -v[82:83]
	s_waitcnt vmcnt(1)
	v_mul_f64 v[9:10], v[192:193], v[130:131]
	v_fma_f64 v[42:43], v[32:33], v[108:109], v[68:69]
	v_mul_f64 v[2:3], v[52:53], v[126:127]
	v_fma_f64 v[68:69], v[52:53], v[124:125], v[94:95]
	v_fma_f64 v[22:23], v[28:29], v[104:105], v[46:47]
	v_mul_f64 v[26:27], v[28:29], v[106:107]
	v_mul_f64 v[28:29], v[30:31], v[90:91]
	v_fma_f64 v[46:47], v[30:31], v[88:89], v[66:67]
	v_mul_f64 v[30:31], v[32:33], v[110:111]
	v_mul_f64 v[32:33], v[48:49], v[118:119]
	s_waitcnt vmcnt(0) lgkmcnt(1)
	v_mul_f64 v[52:53], v[86:87], v[162:163]
	v_fma_f64 v[64:65], v[48:49], v[116:117], v[70:71]
	v_mul_f64 v[48:49], v[50:51], v[122:123]
	ds_load_b64 v[122:123], v145
	v_fma_f64 v[66:67], v[54:55], v[155:156], v[134:135]
	v_mul_f64 v[50:51], v[54:55], v[157:158]
	v_fma_f64 v[94:95], v[74:75], v[96:97], v[216:217]
	v_mul_f64 v[54:55], v[74:75], v[98:99]
	v_fma_f64 v[76:77], v[176:177], v[62:63], -v[214:215]
	v_fma_f64 v[98:99], v[168:169], v[56:57], -v[58:59]
	v_lshlrev_b32_e32 v135, 3, v159
	v_mul_u32_u24_e32 v157, 0x6c0, v61
	v_add_nc_u32_e32 v134, 0x800, v148
	s_delay_alu instid0(VALU_DEP_3) | instskip(SKIP_1) | instid1(VALU_DEP_4)
	v_add3_u32 v135, 0, v11, v135
	v_and_b32_e32 v11, 0xffff, v150
	v_add3_u32 v158, 0, v157, v7
	v_add_f64 v[62:63], v[206:207], v[44:45]
	v_fma_f64 v[70:71], v[0:1], v[128:129], v[9:10]
	v_mul_f64 v[0:1], v[0:1], v[130:131]
	v_mul_f64 v[9:10], v[100:101], v[162:163]
	v_add_f64 v[56:57], v[202:203], v[22:23]
	v_fma_f64 v[104:105], v[182:183], v[104:105], -v[26:27]
	v_add_f64 v[26:27], v[18:19], v[36:37]
	v_fma_f64 v[88:89], v[184:185], v[88:89], -v[28:29]
	;; [unrolled: 2-line block ×3, first 2 shown]
	v_fma_f64 v[74:75], v[100:101], v[160:161], v[52:53]
	v_add_f64 v[30:31], v[38:39], v[46:47]
	v_fma_f64 v[108:109], v[196:197], v[124:125], -v[2:3]
	v_add_f64 v[2:3], v[22:23], v[42:43]
	v_fma_f64 v[106:107], v[188:189], v[116:117], -v[32:33]
	;; [unrolled: 2-line block ×3, first 2 shown]
	v_fma_f64 v[100:101], v[102:103], v[96:97], -v[54:55]
	v_fma_f64 v[102:103], v[180:181], v[84:85], -v[24:25]
	v_add_f64 v[24:25], v[94:95], v[92:93]
	v_fma_f64 v[96:97], v[166:167], v[34:35], -v[136:137]
	v_fma_f64 v[116:117], v[198:199], v[155:156], -v[50:51]
	v_add_f64 v[34:35], v[170:171], v[94:95]
	v_add_f64 v[50:51], v[212:213], v[18:19]
	;; [unrolled: 1-line block ×3, first 2 shown]
	v_add_f64 v[84:85], v[98:99], -v[78:79]
	v_add_f64 v[54:55], v[200:201], v[38:39]
	v_add_f64 v[58:59], v[204:205], v[64:65]
	v_and_b32_e32 v155, 0xffff, v173
	v_mul_u32_u24_e32 v156, 0x6c0, v175
	v_add_f64 v[61:62], v[62:63], v[66:67]
	v_add_f64 v[80:81], v[208:209], v[70:71]
	v_fma_f64 v[120:121], v[192:193], v[128:129], -v[0:1]
	v_add_f64 v[0:1], v[44:45], v[66:67]
	v_fma_f64 v[118:119], v[86:87], v[160:161], -v[9:10]
	v_add_f64 v[56:57], v[56:57], v[42:43]
	v_add3_u32 v160, 0, v156, v6
	v_fma_f64 v[26:27], v[26:27], -0.5, v[212:213]
                                        ; implicit-def: $vgpr6_vgpr7
	v_fma_f64 v[28:29], v[28:29], -0.5, v[210:211]
	v_add_f64 v[124:125], v[104:105], -v[90:91]
	v_add_f64 v[9:10], v[70:71], v[74:75]
	v_fma_f64 v[30:31], v[30:31], -0.5, v[200:201]
	v_fma_f64 v[2:3], v[2:3], -0.5, v[202:203]
	v_add_f64 v[126:127], v[106:107], -v[108:109]
	v_fma_f64 v[32:33], v[32:33], -0.5, v[204:205]
	v_add_f64 v[48:49], v[100:101], -v[40:41]
	v_add_f64 v[86:87], v[102:103], -v[88:89]
	v_fma_f64 v[24:25], v[24:25], -0.5, v[170:171]
	v_add_f64 v[82:83], v[96:97], -v[76:77]
	v_add_f64 v[128:129], v[110:111], -v[116:117]
	v_add_f64 v[34:35], v[34:35], v[92:93]
	v_add_f64 v[50:51], v[50:51], v[36:37]
	;; [unrolled: 1-line block ×6, first 2 shown]
	v_fma_f64 v[0:1], v[0:1], -0.5, v[206:207]
	v_add_f64 v[130:131], v[120:121], -v[118:119]
	v_fma_f64 v[9:10], v[9:10], -0.5, v[208:209]
	v_fma_f64 v[150:151], v[124:125], s[8:9], v[2:3]
	v_fma_f64 v[166:167], v[126:127], s[6:7], v[32:33]
	;; [unrolled: 1-line block ×16, first 2 shown]
	v_mul_u32_u24_e32 v10, 0x6c0, v11
	v_mul_u32_u24_e32 v9, 0x6c0, v60
	;; [unrolled: 1-line block ×3, first 2 shown]
	v_lshl_add_u32 v155, v172, 3, 0
	ds_load_b64 v[130:131], v143
	ds_load_b64 v[128:129], v140
	;; [unrolled: 1-line block ×4, first 2 shown]
	v_add3_u32 v162, 0, v10, v4
	v_add3_u32 v156, 0, v9, v8
	;; [unrolled: 1-line block ×3, first 2 shown]
	v_add_nc_u32_e32 v157, 0x2800, v155
	s_waitcnt lgkmcnt(0)
	s_barrier
	buffer_gl0_inv
	ds_store_2addr_b64 v148, v[34:35], v[80:81] offset1:72
	ds_store_b64 v148, v[24:25] offset:1152
	ds_store_2addr_b64 v135, v[50:51], v[48:49] offset1:72
	ds_store_b64 v135, v[26:27] offset:1152
	;; [unrolled: 2-line block ×7, first 2 shown]
	ds_store_2addr_b64 v157, v[136:137], v[0:1] offset0:16 offset1:88
	ds_store_b64 v155, v[2:3] offset:11520
	s_waitcnt lgkmcnt(0)
	s_barrier
	buffer_gl0_inv
	ds_load_b64 v[142:143], v145
	ds_load_b64 v[140:141], v144
	ds_load_b64 v[150:151], v148 offset:11376
	ds_load_2addr_b64 v[24:27], v148 offset1:216
	ds_load_2addr_b64 v[52:55], v134 offset0:176 offset1:239
	ds_load_2addr_b64 v[84:87], v154 offset0:46 offset1:136
	ds_load_2addr_b64 v[28:31], v147 offset0:96 offset1:159
	ds_load_2addr_b64 v[48:51], v152 offset0:94 offset1:184
	ds_load_2addr_b64 v[80:83], v153 offset0:16 offset1:79
	ds_load_2addr_b64 v[60:63], v134 offset0:23 offset1:86
	ds_load_2addr_b64 v[32:35], v146 offset0:71 offset1:134
	ds_load_2addr_b64 v[56:59], v149 offset0:119 offset1:182
	v_sub_nc_u32_e32 v4, 0, v139
                                        ; implicit-def: $vgpr10_vgpr11
	s_delay_alu instid0(VALU_DEP_1)
	v_add_nc_u32_e32 v159, v138, v4
	s_and_saveexec_b32 s1, s0
	s_cbranch_execz .LBB0_15
; %bb.14:
	v_add_nc_u32_e32 v0, 0xc00, v148
	v_add_nc_u32_e32 v4, 0x1a00, v148
	;; [unrolled: 1-line block ×3, first 2 shown]
	ds_load_b64 v[136:137], v159
	ds_load_2addr_b64 v[0:3], v0 offset0:21 offset1:237
	ds_load_2addr_b64 v[4:7], v4 offset0:5 offset1:221
	;; [unrolled: 1-line block ×3, first 2 shown]
.LBB0_15:
	s_or_b32 exec_lo, exec_lo, s1
	v_add_f64 v[138:139], v[100:101], v[40:41]
	v_add_f64 v[166:167], v[96:97], v[76:77]
	;; [unrolled: 1-line block ×9, first 2 shown]
	v_add_f64 v[92:93], v[94:95], -v[92:93]
	v_add_f64 v[94:95], v[14:15], v[96:97]
	v_add_f64 v[96:97], v[122:123], v[98:99]
	v_add_f64 v[18:19], v[18:19], -v[36:37]
	v_add_f64 v[98:99], v[130:131], v[102:103]
	v_add_f64 v[16:17], v[16:17], -v[20:21]
	v_add_f64 v[36:37], v[38:39], -v[46:47]
	v_add_f64 v[102:103], v[128:129], v[104:105]
	v_add_f64 v[22:23], v[22:23], -v[42:43]
	v_add_f64 v[104:105], v[126:127], v[106:107]
	;; [unrolled: 2-line block ×4, first 2 shown]
	v_add_f64 v[68:69], v[70:71], -v[74:75]
	s_waitcnt lgkmcnt(0)
	s_barrier
	buffer_gl0_inv
	v_fma_f64 v[72:73], v[138:139], -0.5, v[72:73]
	v_fma_f64 v[14:15], v[166:167], -0.5, v[14:15]
	;; [unrolled: 1-line block ×8, first 2 shown]
	v_add_f64 v[40:41], v[100:101], v[40:41]
	v_add_f64 v[74:75], v[94:95], v[76:77]
	;; [unrolled: 1-line block ×8, first 2 shown]
	v_fma_f64 v[96:97], v[92:93], s[8:9], v[72:73]
	v_fma_f64 v[72:73], v[92:93], s[6:7], v[72:73]
	;; [unrolled: 1-line block ×16, first 2 shown]
	ds_store_2addr_b64 v148, v[40:41], v[96:97] offset1:72
	ds_store_b64 v148, v[72:73] offset:1152
	ds_store_2addr_b64 v135, v[74:75], v[92:93] offset1:72
	ds_store_b64 v135, v[18:19] offset:1152
	;; [unrolled: 2-line block ×7, first 2 shown]
	ds_store_2addr_b64 v157, v[138:139], v[12:13] offset0:16 offset1:88
	ds_store_b64 v155, v[14:15] offset:11520
	s_waitcnt lgkmcnt(0)
	s_barrier
	buffer_gl0_inv
	ds_load_2addr_b64 v[36:39], v148 offset1:216
	ds_load_2addr_b64 v[68:71], v134 offset0:176 offset1:239
	ds_load_2addr_b64 v[92:95], v154 offset0:46 offset1:136
	;; [unrolled: 1-line block ×8, first 2 shown]
	ds_load_b64 v[146:147], v145
	ds_load_b64 v[144:145], v144
	ds_load_b64 v[152:153], v148 offset:11376
                                        ; implicit-def: $vgpr22_vgpr23
                                        ; implicit-def: $vgpr18_vgpr19
	s_and_saveexec_b32 s1, s0
	s_cbranch_execz .LBB0_17
; %bb.16:
	v_add_nc_u32_e32 v12, 0xc00, v148
	v_add_nc_u32_e32 v16, 0x1a00, v148
	v_add_nc_u32_e32 v20, 0x2700, v148
	ds_load_b64 v[138:139], v159
	ds_load_2addr_b64 v[12:15], v12 offset0:21 offset1:237
	ds_load_2addr_b64 v[16:19], v16 offset0:5 offset1:221
	ds_load_2addr_b64 v[20:23], v20 offset0:21 offset1:237
.LBB0_17:
	s_or_b32 exec_lo, exec_lo, s1
	s_and_saveexec_b32 s1, vcc_lo
	s_cbranch_execz .LBB0_20
; %bb.18:
	v_mul_u32_u24_e32 v96, 6, v164
	v_mul_i32_i24_e32 v148, 6, v133
	v_mul_lo_u32 v116, s3, v114
	v_mad_u64_u32 v[121:122], null, s2, v114, 0
	s_delay_alu instid0(VALU_DEP_4)
	v_dual_mov_b32 v149, 0 :: v_dual_lshlrev_b32 v120, 4, v96
	v_lshrrev_b32_e32 v114, 3, v164
	v_mul_lo_u32 v115, s2, v115
	v_lshlrev_b64 v[158:159], 4, v[112:113]
	global_load_b128 v[100:103], v120, s[4:5] offset:3456
	v_lshlrev_b64 v[96:97], 4, v[148:149]
	v_mul_i32_i24_e32 v148, 6, v132
	v_mul_hi_u32 v114, 0x97b425f, v114
	s_mov_b32 s16, 0xe976ee23
	s_mov_b32 s18, 0x37e14327
	v_add3_u32 v122, v122, v115, v116
	v_add_co_u32 v156, vcc_lo, s4, v96
	v_add_co_ci_u32_e32 v157, vcc_lo, s5, v97, vcc_lo
	v_lshlrev_b64 v[104:105], 4, v[148:149]
	v_mul_lo_u32 v166, 0xd8, v114
	s_clause 0x1
	global_load_b128 v[96:99], v[156:157], off offset:3440
	global_load_b128 v[108:111], v120, s[4:5] offset:3504
	v_lshlrev_b64 v[160:161], 4, v[121:122]
	s_mov_b32 s14, 0x36b3c0b5
	v_add_co_u32 v154, vcc_lo, s4, v104
	v_add_co_ci_u32_e32 v155, vcc_lo, s5, v105, vcc_lo
	v_sub_nc_u32_e32 v210, v164, v166
	s_delay_alu instid0(VALU_DEP_4)
	v_add_co_u32 v160, vcc_lo, s10, v160
	s_clause 0x1
	global_load_b128 v[104:107], v[154:155], off offset:3504
	global_load_b128 v[116:119], v120, s[4:5] offset:3472
	v_add_nc_u32_e32 v221, 0x438, v210
	v_add_co_ci_u32_e32 v161, vcc_lo, s11, v161, vcc_lo
	v_add_nc_u32_e32 v220, 0x360, v210
	v_add_co_u32 v166, vcc_lo, v160, v158
	s_delay_alu instid0(VALU_DEP_4) | instskip(SKIP_3) | instid1(VALU_DEP_3)
	v_mad_u64_u32 v[202:203], null, s12, v221, 0
	v_add_nc_u32_e32 v218, 0x1b0, v210
	v_add_co_ci_u32_e32 v167, vcc_lo, v161, v159, vcc_lo
	v_mad_u64_u32 v[200:201], null, s12, v220, 0
	v_mad_u64_u32 v[196:197], null, s12, v218, 0
	v_add_nc_u32_e32 v148, 63, v164
	v_add_nc_u32_e32 v162, 0x7e, v164
	s_clause 0x2
	global_load_b128 v[132:135], v120, s[4:5] offset:3440
	global_load_b128 v[128:131], v120, s[4:5] offset:3424
	;; [unrolled: 1-line block ×3, first 2 shown]
	v_mad_u64_u32 v[192:193], null, s12, v210, 0
	v_add_nc_u32_e32 v217, 0xd8, v210
	v_mov_b32_e32 v159, v197
	v_lshrrev_b32_e32 v112, 3, v148
	v_lshrrev_b32_e32 v113, 3, v162
	s_mov_b32 s10, 0x429ad128
	s_mov_b32 s17, 0x3fe11646
	s_mov_b32 s19, 0x3fe948f6
	v_mul_hi_u32 v163, 0x97b425f, v112
	v_mul_hi_u32 v209, 0x97b425f, v113
	s_clause 0x7
	global_load_b128 v[120:123], v[156:157], off offset:3424
	global_load_b128 v[168:171], v[156:157], off offset:3504
	global_load_b128 v[112:115], v[156:157], off offset:3488
	global_load_b128 v[172:175], v[156:157], off offset:3472
	global_load_b128 v[176:179], v[156:157], off offset:3456
	global_load_b128 v[180:183], v[154:155], off offset:3424
	global_load_b128 v[184:187], v[154:155], off offset:3440
	global_load_b128 v[188:191], v[154:155], off offset:3488
	s_mov_b32 s15, 0x3fac98ee
	s_mov_b32 s11, 0xbfebfeb5
	;; [unrolled: 1-line block ×3, first 2 shown]
	v_mul_lo_u32 v156, 0xd8, v163
	v_mul_lo_u32 v157, 0xd8, v209
	s_mov_b32 s6, 0xaaaaaaaa
	s_mov_b32 s24, 0x5476071b
	;; [unrolled: 1-line block ×6, first 2 shown]
	v_sub_nc_u32_e32 v148, v148, v156
	s_mov_b32 s23, 0x3fe77f67
	s_mov_b32 s20, s8
	;; [unrolled: 1-line block ×4, first 2 shown]
	v_mad_u64_u32 v[204:205], null, 0x5e8, v163, v[148:149]
	v_mov_b32_e32 v148, v193
	v_mov_b32_e32 v163, v201
	v_sub_nc_u32_e32 v156, v162, v157
	v_mov_b32_e32 v193, v203
	v_mad_u64_u32 v[194:195], null, s12, v217, 0
	v_add_nc_u32_e32 v219, 0x288, v210
	s_mov_b32 s3, 0xbfdc38aa
	s_waitcnt vmcnt(15) lgkmcnt(9)
	v_mul_f64 v[157:158], v[94:95], v[102:103]
	v_mul_f64 v[102:103], v[86:87], v[102:103]
	s_waitcnt vmcnt(14)
	v_mul_f64 v[160:161], v[92:93], v[98:99]
	v_mul_f64 v[98:99], v[84:85], v[98:99]
	s_waitcnt vmcnt(13) lgkmcnt(6)
	v_mul_f64 v[211:212], v[88:89], v[110:111]
	v_mul_f64 v[213:214], v[80:81], v[110:111]
	v_mad_u64_u32 v[207:208], null, 0x5e8, v209, v[156:157]
	v_fma_f64 v[110:111], v[94:95], v[100:101], -v[102:103]
	v_fma_f64 v[156:157], v[86:87], v[100:101], v[157:158]
	v_mad_u64_u32 v[208:209], null, s13, v210, v[148:149]
	v_mov_b32_e32 v148, v195
	v_add_nc_u32_e32 v222, 0x510, v210
	v_mad_u64_u32 v[198:199], null, s12, v219, 0
	v_mad_u64_u32 v[209:210], null, s12, v204, 0
	s_delay_alu instid0(VALU_DEP_3)
	v_mad_u64_u32 v[205:206], null, s12, v222, 0
	v_mad_u64_u32 v[94:95], null, s13, v218, v[159:160]
	v_fma_f64 v[160:161], v[84:85], v[96:97], v[160:161]
	s_waitcnt vmcnt(12)
	v_mul_f64 v[84:85], v[90:91], v[106:107]
	v_fma_f64 v[158:159], v[92:93], v[96:97], -v[98:99]
	v_mul_f64 v[92:93], v[82:83], v[106:107]
	v_mov_b32_e32 v162, v199
	v_mad_u64_u32 v[86:87], null, s13, v217, v[148:149]
	v_dual_mov_b32 v195, v206 :: v_dual_add_nc_u32 v236, 0xd8, v204
	v_mad_u64_u32 v[215:216], null, s12, v207, 0
	v_add_nc_u32_e32 v237, 0x1b0, v204
	v_mad_u64_u32 v[100:101], null, s13, v219, v[162:163]
	v_mad_u64_u32 v[101:102], null, s13, v220, v[163:164]
	v_mad_u64_u32 v[102:103], null, s13, v221, v[193:194]
	v_mov_b32_e32 v193, v208
	v_mad_u64_u32 v[217:218], null, s13, v222, v[195:196]
	v_mov_b32_e32 v195, v86
	v_mad_u64_u32 v[218:219], null, s12, v236, 0
	v_dual_mov_b32 v197, v94 :: v_dual_add_nc_u32 v238, 0x288, v204
	s_delay_alu instid0(VALU_DEP_4)
	v_dual_mov_b32 v206, v217 :: v_dual_add_nc_u32 v239, 0x360, v204
	v_dual_mov_b32 v201, v101 :: v_dual_add_nc_u32 v242, 0xd8, v207
	v_fma_f64 v[162:163], v[80:81], v[108:109], v[211:212]
	v_mov_b32_e32 v80, v210
	v_mad_u64_u32 v[220:221], null, s12, v237, 0
	v_dual_mov_b32 v199, v100 :: v_dual_add_nc_u32 v240, 0x438, v204
	v_add_nc_u32_e32 v241, 0x510, v204
	v_dual_mov_b32 v81, v216 :: v_dual_add_nc_u32 v244, 0x360, v207
	v_mad_u64_u32 v[222:223], null, s12, v238, 0
	v_mad_u64_u32 v[224:225], null, s12, v239, 0
	;; [unrolled: 1-line block ×4, first 2 shown]
	v_dual_mov_b32 v203, v102 :: v_dual_add_nc_u32 v148, 0x1b0, v207
	v_fma_f64 v[108:109], v[88:89], v[108:109], -v[213:214]
	v_mad_u64_u32 v[94:95], null, s13, v204, v[80:81]
	v_mov_b32_e32 v80, v219
	v_mad_u64_u32 v[213:214], null, s12, v241, 0
	v_add_nc_u32_e32 v243, 0x288, v207
	v_fma_f64 v[106:107], v[82:83], v[104:105], v[84:85]
	v_dual_mov_b32 v82, v221 :: v_dual_add_nc_u32 v245, 0x438, v207
	v_mov_b32_e32 v84, v225
	v_mad_u64_u32 v[232:233], null, s12, v244, 0
	v_mad_u64_u32 v[228:229], null, s12, v148, 0
	v_dual_mov_b32 v83, v223 :: v_dual_add_nc_u32 v246, 0x510, v207
	v_mad_u64_u32 v[230:231], null, s12, v243, 0
	v_fma_f64 v[104:105], v[90:91], v[104:105], -v[92:93]
	v_mad_u64_u32 v[90:91], null, s13, v207, v[81:82]
	v_mov_b32_e32 v81, v227
	v_mad_u64_u32 v[234:235], null, s12, v245, 0
	v_dual_mov_b32 v85, v212 :: v_dual_mov_b32 v86, v214
	v_mad_u64_u32 v[207:208], null, s13, v237, v[82:83]
	v_mov_b32_e32 v82, v233
	v_mad_u64_u32 v[102:103], null, s13, v236, v[80:81]
	v_mad_u64_u32 v[236:237], null, s13, v238, v[83:84]
	;; [unrolled: 1-line block ×3, first 2 shown]
	v_dual_mov_b32 v87, v229 :: v_dual_mov_b32 v80, v231
	v_mad_u64_u32 v[238:239], null, s13, v240, v[85:86]
	v_lshlrev_b64 v[84:85], 4, v[192:193]
	v_dual_mov_b32 v83, v235 :: v_dual_mov_b32 v210, v94
	v_mad_u64_u32 v[239:240], null, s13, v242, v[81:82]
	v_mad_u64_u32 v[192:193], null, s13, v241, v[86:87]
	;; [unrolled: 1-line block ×4, first 2 shown]
	v_add_co_u32 v88, vcc_lo, v166, v84
	v_mad_u64_u32 v[242:243], null, s13, v244, v[82:83]
	v_mad_u64_u32 v[243:244], null, s13, v245, v[83:84]
	v_add_co_ci_u32_e32 v89, vcc_lo, v167, v85, vcc_lo
	s_clause 0x1
	global_load_b128 v[80:83], v[154:155], off offset:3472
	global_load_b128 v[84:87], v[154:155], off offset:3456
	v_lshlrev_b64 v[91:92], 4, v[194:195]
	v_lshlrev_b64 v[95:96], 4, v[196:197]
	;; [unrolled: 1-line block ×3, first 2 shown]
	v_dual_mov_b32 v216, v90 :: v_dual_mov_b32 v221, v207
	v_lshlrev_b64 v[99:100], 4, v[200:201]
	v_add_co_u32 v90, vcc_lo, v166, v91
	v_add_co_ci_u32_e32 v91, vcc_lo, v167, v92, vcc_lo
	v_add_co_u32 v92, vcc_lo, v166, v95
	v_add_co_ci_u32_e32 v93, vcc_lo, v167, v96, vcc_lo
	v_lshlrev_b64 v[154:155], 4, v[202:203]
	v_add_co_u32 v94, vcc_lo, v166, v97
	v_add_co_ci_u32_e32 v95, vcc_lo, v167, v98, vcc_lo
	v_add_co_u32 v96, vcc_lo, v166, v99
	v_add_co_ci_u32_e32 v97, vcc_lo, v167, v100, vcc_lo
	;; [unrolled: 2-line block ×3, first 2 shown]
	s_waitcnt vmcnt(8) lgkmcnt(0)
	v_mul_f64 v[154:155], v[152:153], v[170:171]
	v_mul_f64 v[170:171], v[150:151], v[170:171]
	v_mul_f64 v[195:196], v[68:69], v[134:135]
	v_mul_f64 v[134:135], v[52:53], v[134:135]
	v_mul_f64 v[197:198], v[38:39], v[130:131]
	v_lshlrev_b64 v[193:194], 4, v[205:206]
	v_dual_mov_b32 v219, v102 :: v_dual_mov_b32 v214, v192
	v_mul_f64 v[199:200], v[26:27], v[130:131]
	v_mul_f64 v[201:202], v[66:67], v[126:127]
	s_waitcnt vmcnt(7)
	v_mul_f64 v[203:204], v[74:75], v[114:115]
	v_add_co_u32 v100, vcc_lo, v166, v193
	v_add_co_ci_u32_e32 v101, vcc_lo, v167, v194, vcc_lo
	v_mad_u64_u32 v[193:194], null, s12, v246, 0
	v_mov_b32_e32 v225, v237
	v_mul_f64 v[114:115], v[58:59], v[114:115]
	v_dual_mov_b32 v223, v236 :: v_dual_mov_b32 v212, v238
	v_lshlrev_b64 v[205:206], 4, v[220:221]
	v_dual_mov_b32 v227, v239 :: v_dual_mov_b32 v102, v194
	s_delay_alu instid0(VALU_DEP_3)
	v_lshlrev_b64 v[207:208], 4, v[222:223]
	v_mov_b32_e32 v231, v241
	v_mov_b32_e32 v233, v242
	;; [unrolled: 1-line block ×3, first 2 shown]
	v_fma_f64 v[130:131], v[150:151], v[168:169], v[154:155]
	v_mul_f64 v[150:151], v[50:51], v[126:127]
	v_fma_f64 v[126:127], v[152:153], v[168:169], -v[170:171]
	v_mad_u64_u32 v[170:171], null, s13, v246, v[102:103]
	v_mul_f64 v[152:153], v[40:41], v[118:119]
	v_mul_f64 v[154:155], v[28:29], v[118:119]
	v_add_nc_u32_e32 v118, 0xbd, v164
	v_mul_f64 v[168:169], v[78:79], v[122:123]
	v_mul_f64 v[122:123], v[62:63], v[122:123]
	v_dual_mov_b32 v229, v240 :: v_dual_mov_b32 v194, v170
	s_waitcnt vmcnt(4)
	v_mul_f64 v[170:171], v[76:77], v[182:183]
	v_mul_f64 v[182:183], v[60:61], v[182:183]
	v_fma_f64 v[195:196], v[52:53], v[132:133], v[195:196]
	v_fma_f64 v[132:133], v[68:69], v[132:133], -v[134:135]
	s_waitcnt vmcnt(3)
	v_mul_f64 v[134:135], v[54:55], v[186:187]
	v_mul_f64 v[186:187], v[70:71], v[186:187]
	v_fma_f64 v[197:198], v[26:27], v[128:129], v[197:198]
	s_waitcnt vmcnt(2)
	v_mul_f64 v[26:27], v[56:57], v[190:191]
	v_mul_f64 v[190:191], v[72:73], v[190:191]
	v_fma_f64 v[128:129], v[38:39], v[128:129], -v[199:200]
	v_fma_f64 v[199:200], v[50:51], v[124:125], v[201:202]
	v_mul_f64 v[201:202], v[46:47], v[178:179]
	v_fma_f64 v[203:204], v[58:59], v[112:113], v[203:204]
	v_fma_f64 v[74:75], v[74:75], v[112:113], -v[114:115]
	v_lshlrev_b64 v[102:103], 4, v[209:210]
	v_lshlrev_b64 v[209:210], 4, v[224:225]
	;; [unrolled: 1-line block ×6, first 2 shown]
	v_add_co_u32 v102, vcc_lo, v166, v102
	v_add_co_ci_u32_e32 v103, vcc_lo, v167, v103, vcc_lo
	v_cmp_gt_u32_e32 vcc_lo, 0xd8, v118
	v_fma_f64 v[124:125], v[66:67], v[124:125], -v[150:151]
	v_mul_f64 v[150:151], v[64:65], v[174:175]
	v_mul_f64 v[174:175], v[48:49], v[174:175]
	v_lshlrev_b64 v[66:67], 4, v[211:212]
	v_fma_f64 v[152:153], v[28:29], v[116:117], v[152:153]
	v_fma_f64 v[116:117], v[40:41], v[116:117], -v[154:155]
	v_mul_f64 v[154:155], v[34:35], v[178:179]
	v_fma_f64 v[68:69], v[62:63], v[120:121], v[168:169]
	v_fma_f64 v[78:79], v[78:79], v[120:121], -v[122:123]
	v_lshlrev_b64 v[168:169], 4, v[215:216]
	v_lshlrev_b64 v[178:179], 4, v[218:219]
	v_fma_f64 v[60:61], v[60:61], v[180:181], v[170:171]
	v_fma_f64 v[76:77], v[76:77], v[180:181], -v[182:183]
	v_lshlrev_b64 v[28:29], 4, v[193:194]
	v_lshlrev_b64 v[62:63], 4, v[213:214]
	v_fma_f64 v[70:71], v[70:71], v[184:185], -v[134:135]
	v_fma_f64 v[54:55], v[54:55], v[184:185], v[186:187]
	v_lshlrev_b64 v[40:41], 4, v[232:233]
	v_fma_f64 v[72:73], v[72:73], v[188:189], -v[26:27]
	v_fma_f64 v[56:57], v[56:57], v[188:189], v[190:191]
	v_add_f64 v[114:115], v[128:129], v[108:109]
	v_add_f64 v[134:135], v[195:196], v[199:200]
	v_fma_f64 v[112:113], v[34:35], v[176:177], v[201:202]
	v_add_co_u32 v26, s1, v166, v168
	s_delay_alu instid0(VALU_DEP_1) | instskip(SKIP_2) | instid1(VALU_DEP_1)
	v_add_co_ci_u32_e64 v27, s1, v167, v169, s1
	v_add_f64 v[108:109], v[128:129], -v[108:109]
	v_add_co_u32 v34, s1, v166, v178
	v_add_co_ci_u32_e64 v35, s1, v167, v179, s1
	v_fma_f64 v[48:49], v[48:49], v[172:173], v[150:151]
	v_fma_f64 v[64:65], v[64:65], v[172:173], -v[174:175]
	v_add_f64 v[168:169], v[152:153], -v[156:157]
	v_add_f64 v[152:153], v[152:153], v[156:157]
	v_fma_f64 v[46:47], v[46:47], v[176:177], -v[154:155]
	v_add_f64 v[150:151], v[68:69], v[130:131]
	v_add_f64 v[156:157], v[195:196], -v[199:200]
	v_add_f64 v[68:69], v[68:69], -v[130:131]
	v_add_co_u32 v154, s1, v166, v205
	v_add_f64 v[170:171], v[60:61], v[106:107]
	v_add_co_ci_u32_e64 v155, s1, v167, v206, s1
	v_add_co_u32 v174, s1, v166, v207
	s_delay_alu instid0(VALU_DEP_1)
	v_add_co_ci_u32_e64 v175, s1, v167, v208, s1
	v_add_f64 v[172:173], v[54:55], v[56:57]
	v_add_f64 v[54:55], v[54:55], -v[56:57]
	v_add_f64 v[56:57], v[60:61], -v[106:107]
	;; [unrolled: 1-line block ×3, first 2 shown]
	v_add_f64 v[48:49], v[48:49], v[112:113]
	v_add_f64 v[182:183], v[152:153], -v[134:135]
	v_add_f64 v[176:177], v[64:65], v[46:47]
	v_add_f64 v[46:47], v[64:65], -v[46:47]
	v_add_f64 v[64:65], v[158:159], -v[74:75]
	v_add_f64 v[106:107], v[168:169], v[156:157]
	v_add_f64 v[184:185], v[170:171], v[172:173]
	v_add_f64 v[194:195], v[150:151], -v[48:49]
	v_mul_f64 v[182:183], v[182:183], s[14:15]
	v_add_f64 v[200:201], v[46:47], v[64:65]
	s_waitcnt vmcnt(1)
	v_mul_f64 v[119:120], v[42:43], v[82:83]
	s_waitcnt vmcnt(0)
	v_mul_f64 v[121:122], v[44:45], v[86:87]
	v_mul_f64 v[86:87], v[32:33], v[86:87]
	;; [unrolled: 1-line block ×3, first 2 shown]
	s_delay_alu instid0(VALU_DEP_4) | instskip(NEXT) | instid1(VALU_DEP_4)
	v_fma_f64 v[30:31], v[30:31], v[80:81], v[119:120]
	v_fma_f64 v[32:33], v[32:33], v[84:85], v[121:122]
	v_add_f64 v[119:120], v[132:133], v[124:125]
	v_add_f64 v[121:122], v[197:198], v[162:163]
	v_fma_f64 v[44:45], v[44:45], v[84:85], -v[86:87]
	v_fma_f64 v[42:43], v[42:43], v[80:81], -v[82:83]
	v_add_f64 v[80:81], v[116:117], v[110:111]
	v_add_f64 v[82:83], v[197:198], -v[162:163]
	v_add_f64 v[162:163], v[160:161], v[203:204]
	v_add_f64 v[110:111], v[116:117], -v[110:111]
	v_add_f64 v[116:117], v[132:133], -v[124:125]
	v_add_f64 v[123:124], v[76:77], v[104:105]
	v_add_f64 v[132:133], v[70:71], v[72:73]
	;; [unrolled: 1-line block ×4, first 2 shown]
	v_add_f64 v[160:161], v[160:161], -v[203:204]
	v_add_f64 v[78:79], v[78:79], -v[126:127]
	;; [unrolled: 1-line block ×3, first 2 shown]
	v_add_co_u32 v158, s1, v166, v209
	s_delay_alu instid0(VALU_DEP_1)
	v_add_co_ci_u32_e64 v159, s1, v167, v210, s1
	v_add_f64 v[125:126], v[30:31], -v[32:33]
	v_add_f64 v[74:75], v[114:115], v[119:120]
	v_add_f64 v[112:113], v[121:122], v[134:135]
	;; [unrolled: 1-line block ×4, first 2 shown]
	v_add_f64 v[32:33], v[42:43], -v[44:45]
	v_add_f64 v[42:43], v[70:71], -v[72:73]
	v_add_f64 v[72:73], v[150:151], v[162:163]
	v_add_f64 v[70:71], v[76:77], -v[104:105]
	v_add_f64 v[76:77], v[82:83], -v[168:169]
	;; [unrolled: 1-line block ×3, first 2 shown]
	v_add_f64 v[178:179], v[123:124], v[132:133]
	v_add_f64 v[130:131], v[114:115], -v[80:81]
	v_add_f64 v[44:45], v[84:85], v[86:87]
	v_add_f64 v[168:169], v[168:169], -v[156:157]
	v_add_f64 v[156:157], v[156:157], -v[82:83]
	;; [unrolled: 1-line block ×3, first 2 shown]
	v_add_f64 v[188:189], v[110:111], v[116:117]
	v_add_f64 v[116:117], v[116:117], -v[108:109]
	v_add_f64 v[180:181], v[121:122], -v[152:153]
	v_add_f64 v[114:115], v[119:120], -v[114:115]
	v_add_f64 v[119:120], v[134:135], -v[121:122]
	v_add_f64 v[121:122], v[128:129], -v[160:161]
	v_add_f64 v[134:135], v[128:129], v[160:161]
	v_add_f64 v[190:191], v[84:85], -v[176:177]
	v_add_f64 v[192:193], v[176:177], -v[86:87]
	;; [unrolled: 1-line block ×8, first 2 shown]
	v_add_f64 v[82:83], v[82:83], v[106:107]
	v_add_f64 v[127:128], v[68:69], -v[128:129]
	v_add_f64 v[78:79], v[78:79], v[200:201]
	v_add_f64 v[46:47], v[125:126], -v[54:55]
	v_add_f64 v[74:75], v[80:81], v[74:75]
	v_add_f64 v[80:81], v[152:153], v[112:113]
	v_add_f64 v[112:113], v[160:161], -v[68:69]
	v_add_f64 v[152:153], v[54:55], -v[56:57]
	v_add_f64 v[54:55], v[125:126], v[54:55]
	v_add_f64 v[160:161], v[32:33], -v[42:43]
	v_add_f64 v[72:73], v[48:49], v[72:73]
	v_add_f64 v[202:203], v[123:124], -v[60:61]
	v_add_f64 v[48:49], v[60:61], -v[132:133]
	;; [unrolled: 1-line block ×4, first 2 shown]
	v_add_f64 v[60:61], v[60:61], v[178:179]
	v_add_f64 v[178:179], v[170:171], -v[30:31]
	v_add_f64 v[170:171], v[172:173], -v[170:171]
	v_add_f64 v[172:173], v[30:31], v[184:185]
	v_add_f64 v[162:163], v[176:177], v[44:45]
	v_add_f64 v[176:177], v[42:43], -v[70:71]
	v_add_f64 v[204:205], v[32:33], v[42:43]
	v_mul_f64 v[104:105], v[104:105], s[14:15]
	v_mul_f64 v[184:185], v[130:131], s[18:19]
	;; [unrolled: 1-line block ×4, first 2 shown]
	v_add_f64 v[208:209], v[70:71], -v[32:33]
	v_mul_f64 v[106:107], v[186:187], s[16:17]
	v_mul_f64 v[186:187], v[116:117], s[10:11]
	;; [unrolled: 1-line block ×3, first 2 shown]
	v_add_f64 v[125:126], v[56:57], -v[125:126]
	v_add_f64 v[108:109], v[108:109], v[188:189]
	v_mul_f64 v[188:189], v[192:193], s[14:15]
	v_mul_f64 v[192:193], v[190:191], s[18:19]
	;; [unrolled: 1-line block ×3, first 2 shown]
	v_add_f64 v[32:33], v[36:37], v[74:75]
	v_add_f64 v[30:31], v[24:25], v[80:81]
	v_add_f64 v[24:25], v[68:69], v[134:135]
	v_mul_f64 v[36:37], v[112:113], s[10:11]
	v_mul_f64 v[68:69], v[121:122], s[16:17]
	;; [unrolled: 1-line block ×9, first 2 shown]
	v_add_f64 v[54:55], v[56:57], v[54:55]
	v_mul_f64 v[56:57], v[132:133], s[14:15]
	v_add_f64 v[48:49], v[144:145], v[60:61]
	v_mul_f64 v[132:133], v[178:179], s[18:19]
	v_add_f64 v[46:47], v[140:141], v[172:173]
	v_add_f64 v[44:45], v[146:147], v[162:163]
	;; [unrolled: 1-line block ×3, first 2 shown]
	v_mul_f64 v[142:143], v[176:177], s[10:11]
	v_mul_f64 v[146:147], v[194:195], s[18:19]
	v_fma_f64 v[129:130], v[130:131], s[18:19], v[104:105]
	v_fma_f64 v[140:141], v[114:115], s[24:25], -v[184:185]
	v_fma_f64 v[104:105], v[114:115], s[22:23], -v[104:105]
	;; [unrolled: 1-line block ×3, first 2 shown]
	v_fma_f64 v[76:77], v[76:77], s[8:9], v[168:169]
	v_fma_f64 v[144:145], v[156:157], s[10:11], -v[168:169]
	v_fma_f64 v[156:157], v[180:181], s[18:19], v[182:183]
	v_fma_f64 v[180:181], v[110:111], s[8:9], v[106:107]
	v_fma_f64 v[110:111], v[110:111], s[20:21], -v[186:187]
	v_fma_f64 v[106:107], v[116:117], s[10:11], -v[106:107]
	v_fma_f64 v[168:169], v[119:120], s[24:25], -v[210:211]
	v_fma_f64 v[119:120], v[119:120], s[22:23], -v[182:183]
	v_add_f64 v[70:71], v[70:71], v[204:205]
	v_fma_f64 v[116:117], v[190:191], s[18:19], v[188:189]
	v_fma_f64 v[182:183], v[84:85], s[24:25], -v[192:193]
	v_fma_f64 v[84:85], v[84:85], s[22:23], -v[188:189]
	v_fma_f64 v[74:75], v[74:75], s[6:7], v[32:33]
	v_fma_f64 v[80:81], v[80:81], s[6:7], v[30:31]
	v_fma_f64 v[36:37], v[127:128], s[20:21], -v[36:37]
	v_fma_f64 v[127:128], v[127:128], s[8:9], v[68:69]
	v_fma_f64 v[68:69], v[112:113], s[10:11], -v[68:69]
	;; [unrolled: 2-line block ×6, first 2 shown]
	v_fma_f64 v[123:124], v[123:124], s[22:23], -v[212:213]
	v_fma_f64 v[178:179], v[178:179], s[18:19], v[56:57]
	v_fma_f64 v[60:61], v[60:61], s[6:7], v[48:49]
	v_fma_f64 v[131:132], v[170:171], s[24:25], -v[132:133]
	v_fma_f64 v[56:57], v[170:171], s[22:23], -v[56:57]
	v_fma_f64 v[170:171], v[172:173], s[6:7], v[46:47]
	v_fma_f64 v[162:163], v[162:163], s[6:7], v[44:45]
	v_fma_f64 v[142:143], v[208:209], s[20:21], -v[142:143]
	v_add_co_u32 v172, s1, v166, v66
	v_fma_f64 v[184:185], v[150:151], s[8:9], v[134:135]
	v_fma_f64 v[72:73], v[72:73], s[6:7], v[42:43]
	v_add_co_ci_u32_e64 v173, s1, v167, v67, s1
	v_fma_f64 v[66:67], v[150:151], s[20:21], -v[200:201]
	v_fma_f64 v[146:147], v[86:87], s[24:25], -v[146:147]
	;; [unrolled: 1-line block ×4, first 2 shown]
	v_fma_f64 v[76:77], v[82:83], s[2:3], v[76:77]
	v_fma_f64 v[121:122], v[108:109], s[2:3], v[180:181]
	;; [unrolled: 1-line block ×6, first 2 shown]
	v_add_f64 v[108:109], v[129:130], v[74:75]
	v_add_f64 v[129:130], v[156:157], v[80:81]
	;; [unrolled: 1-line block ×6, first 2 shown]
	v_fma_f64 v[104:105], v[24:25], s[2:3], v[127:128]
	v_fma_f64 v[150:151], v[54:55], s[2:3], v[186:187]
	;; [unrolled: 1-line block ×8, first 2 shown]
	v_add_f64 v[168:169], v[176:177], v[60:61]
	v_add_f64 v[176:177], v[190:191], v[60:61]
	;; [unrolled: 1-line block ×7, first 2 shown]
	v_fma_f64 v[162:163], v[70:71], s[2:3], v[142:143]
	v_add_f64 v[180:181], v[131:132], v[170:171]
	v_add_f64 v[131:132], v[56:57], v[170:171]
	v_fma_f64 v[119:120], v[78:79], s[2:3], v[184:185]
	v_add_f64 v[112:113], v[112:113], v[72:73]
	v_fma_f64 v[182:183], v[78:79], s[2:3], v[66:67]
	v_add_f64 v[186:187], v[146:147], v[72:73]
	v_add_f64 v[86:87], v[86:87], v[72:73]
	v_fma_f64 v[184:185], v[78:79], s[2:3], v[64:65]
	v_add_co_u32 v170, s1, v166, v62
	s_delay_alu instid0(VALU_DEP_1)
	v_add_co_ci_u32_e64 v171, s1, v167, v63, s1
	v_add_co_u32 v188, s1, v166, v58
	v_add_f64 v[56:57], v[76:77], v[108:109]
	v_add_f64 v[76:77], v[108:109], -v[76:77]
	v_add_f64 v[72:73], v[133:134], -v[114:115]
	;; [unrolled: 1-line block ×3, first 2 shown]
	v_add_f64 v[68:69], v[82:83], v[74:75]
	v_add_f64 v[74:75], v[121:122], v[129:130]
	v_add_f64 v[70:71], v[110:111], v[140:141]
	v_add_f64 v[66:67], v[80:81], -v[106:107]
	v_add_f64 v[62:63], v[106:107], v[80:81]
	v_add_co_ci_u32_e64 v189, s1, v167, v59, s1
	v_add_f64 v[60:61], v[114:115], v[133:134]
	v_add_f64 v[58:59], v[140:141], -v[110:111]
	v_add_f64 v[54:55], v[129:130], -v[121:122]
	v_add_f64 v[129:130], v[150:151], v[176:177]
	v_add_f64 v[133:134], v[123:124], -v[152:153]
	v_add_f64 v[142:143], v[152:153], v[123:124]
	v_add_f64 v[146:147], v[176:177], -v[150:151]
	v_add_f64 v[152:153], v[168:169], -v[127:128]
	v_add_f64 v[150:151], v[156:157], v[178:179]
	v_add_f64 v[106:107], v[144:145], -v[24:25]
	v_add_f64 v[110:111], v[24:25], v[144:145]
	v_add_f64 v[144:145], v[162:163], v[180:181]
	v_add_f64 v[140:141], v[131:132], -v[160:161]
	v_add_f64 v[131:132], v[160:161], v[131:132]
	;; [unrolled: 3-line block ×3, first 2 shown]
	v_add_f64 v[127:128], v[180:181], -v[162:163]
	v_add_f64 v[123:124], v[178:179], -v[156:157]
	;; [unrolled: 1-line block ×4, first 2 shown]
	v_add_f64 v[119:120], v[119:120], v[112:113]
	v_add_f64 v[112:113], v[182:183], v[186:187]
	v_add_f64 v[108:109], v[86:87], -v[184:185]
	v_add_f64 v[80:81], v[104:105], v[116:117]
	v_add_f64 v[104:105], v[184:185], v[86:87]
	v_add_f64 v[82:83], v[186:187], -v[182:183]
	v_add_co_u32 v24, s1, v166, v52
	s_delay_alu instid0(VALU_DEP_1) | instskip(SKIP_1) | instid1(VALU_DEP_1)
	v_add_co_ci_u32_e64 v25, s1, v167, v53, s1
	v_add_co_u32 v36, s1, v166, v50
	v_add_co_ci_u32_e64 v37, s1, v167, v51, s1
	v_add_co_u32 v40, s1, v166, v40
	s_delay_alu instid0(VALU_DEP_1) | instskip(SKIP_1) | instid1(VALU_DEP_1)
	v_add_co_ci_u32_e64 v41, s1, v167, v41, s1
	v_add_co_u32 v38, s1, v166, v38
	v_add_co_ci_u32_e64 v39, s1, v167, v39, s1
	v_add_co_u32 v28, s1, v166, v28
	s_delay_alu instid0(VALU_DEP_1)
	v_add_co_ci_u32_e64 v29, s1, v167, v29, s1
	s_clause 0x14
	global_store_b128 v[88:89], v[30:33], off
	global_store_b128 v[90:91], v[74:77], off
	;; [unrolled: 1-line block ×21, first 2 shown]
	s_and_b32 exec_lo, exec_lo, vcc_lo
	s_cbranch_execz .LBB0_20
; %bb.19:
	v_subrev_nc_u32_e32 v24, 27, v164
	v_add_nc_u32_e32 v60, 0x195, v164
	v_add_nc_u32_e32 v61, 0x26d, v164
	;; [unrolled: 1-line block ×4, first 2 shown]
	v_cndmask_b32_e64 v24, v24, v165, s0
	v_add_nc_u32_e32 v64, 0x4f5, v164
	v_add_nc_u32_e32 v65, 0x5cd, v164
	s_delay_alu instid0(VALU_DEP_3) | instskip(NEXT) | instid1(VALU_DEP_1)
	v_mul_i32_i24_e32 v148, 6, v24
	v_lshlrev_b64 v[24:25], 4, v[148:149]
	s_delay_alu instid0(VALU_DEP_1) | instskip(NEXT) | instid1(VALU_DEP_2)
	v_add_co_u32 v44, vcc_lo, s4, v24
	v_add_co_ci_u32_e32 v45, vcc_lo, s5, v25, vcc_lo
	s_clause 0x5
	global_load_b128 v[24:27], v[44:45], off offset:3424
	global_load_b128 v[28:31], v[44:45], off offset:3440
	;; [unrolled: 1-line block ×6, first 2 shown]
	s_waitcnt vmcnt(5)
	v_mul_f64 v[48:49], v[12:13], v[26:27]
	v_mul_f64 v[26:27], v[0:1], v[26:27]
	s_waitcnt vmcnt(4)
	v_mul_f64 v[50:51], v[14:15], v[30:31]
	v_mul_f64 v[30:31], v[2:3], v[30:31]
	;; [unrolled: 3-line block ×6, first 2 shown]
	v_fma_f64 v[0:1], v[0:1], v[24:25], v[48:49]
	v_fma_f64 v[12:13], v[12:13], v[24:25], -v[26:27]
	v_fma_f64 v[2:3], v[2:3], v[28:29], v[50:51]
	v_fma_f64 v[14:15], v[14:15], v[28:29], -v[30:31]
	;; [unrolled: 2-line block ×6, first 2 shown]
	v_mad_u64_u32 v[48:49], null, s12, v65, 0
	v_add_f64 v[24:25], v[0:1], v[10:11]
	v_add_f64 v[26:27], v[12:13], v[22:23]
	;; [unrolled: 1-line block ×4, first 2 shown]
	v_add_f64 v[2:3], v[2:3], -v[8:9]
	v_add_f64 v[8:9], v[14:15], -v[20:21]
	v_add_f64 v[14:15], v[4:5], v[6:7]
	v_add_f64 v[20:21], v[16:17], v[18:19]
	v_add_f64 v[4:5], v[6:7], -v[4:5]
	v_add_f64 v[6:7], v[18:19], -v[16:17]
	;; [unrolled: 1-line block ×4, first 2 shown]
	v_add_f64 v[0:1], v[28:29], v[24:25]
	v_add_f64 v[16:17], v[30:31], v[26:27]
	v_add_f64 v[18:19], v[24:25], -v[14:15]
	v_add_f64 v[22:23], v[26:27], -v[20:21]
	v_add_f64 v[32:33], v[4:5], -v[2:3]
	v_add_f64 v[34:35], v[6:7], -v[8:9]
	v_add_f64 v[36:37], v[2:3], -v[10:11]
	v_add_f64 v[38:39], v[8:9], -v[12:13]
	v_add_f64 v[42:43], v[4:5], v[2:3]
	v_add_f64 v[8:9], v[6:7], v[8:9]
	v_add_f64 v[4:5], v[10:11], -v[4:5]
	v_add_f64 v[6:7], v[12:13], -v[6:7]
	;; [unrolled: 1-line block ×4, first 2 shown]
	v_add_f64 v[40:41], v[14:15], v[0:1]
	v_add_f64 v[16:17], v[20:21], v[16:17]
	v_add_f64 v[14:15], v[14:15], -v[28:29]
	v_add_f64 v[20:21], v[20:21], -v[30:31]
	v_mul_f64 v[18:19], v[18:19], s[18:19]
	v_mul_f64 v[22:23], v[22:23], s[18:19]
	;; [unrolled: 1-line block ×6, first 2 shown]
	v_add_f64 v[10:11], v[42:43], v[10:11]
	v_add_f64 v[8:9], v[8:9], v[12:13]
	;; [unrolled: 1-line block ×4, first 2 shown]
	v_mul_f64 v[28:29], v[14:15], s[14:15]
	v_mul_f64 v[30:31], v[20:21], s[14:15]
	v_fma_f64 v[12:13], v[14:15], s[14:15], v[18:19]
	v_fma_f64 v[14:15], v[20:21], s[14:15], v[22:23]
	;; [unrolled: 1-line block ×4, first 2 shown]
	v_fma_f64 v[32:33], v[36:37], s[10:11], -v[32:33]
	v_fma_f64 v[34:35], v[38:39], s[10:11], -v[34:35]
	;; [unrolled: 1-line block ×6, first 2 shown]
	v_mad_u64_u32 v[38:39], null, s12, v61, 0
	v_mad_u64_u32 v[44:45], null, s12, v63, 0
	;; [unrolled: 1-line block ×3, first 2 shown]
	v_fma_f64 v[36:37], v[40:41], s[6:7], v[0:1]
	v_fma_f64 v[16:17], v[16:17], s[6:7], v[2:3]
	v_fma_f64 v[24:25], v[24:25], s[22:23], -v[28:29]
	v_fma_f64 v[26:27], v[26:27], s[22:23], -v[30:31]
	v_mad_u64_u32 v[28:29], null, s12, v118, 0
	v_fma_f64 v[50:51], v[10:11], s[2:3], v[20:21]
	v_fma_f64 v[42:43], v[8:9], s[2:3], v[42:43]
	;; [unrolled: 1-line block ×5, first 2 shown]
	v_mov_b32_e32 v10, v49
	v_fma_f64 v[52:53], v[8:9], s[2:3], v[6:7]
	v_mad_u64_u32 v[30:31], null, s12, v60, 0
	v_mad_u64_u32 v[40:41], null, s12, v62, 0
	v_mov_b32_e32 v6, v39
	v_dual_mov_b32 v8, v45 :: v_dual_mov_b32 v9, v47
	s_delay_alu instid0(VALU_DEP_4) | instskip(SKIP_2) | instid1(VALU_DEP_3)
	v_mad_u64_u32 v[4:5], null, s13, v118, v[29:30]
	v_mov_b32_e32 v5, v31
	v_mov_b32_e32 v7, v41
	;; [unrolled: 1-line block ×3, first 2 shown]
	s_delay_alu instid0(VALU_DEP_1)
	v_lshlrev_b64 v[28:29], 4, v[28:29]
	v_add_f64 v[54:55], v[12:13], v[36:37]
	v_add_f64 v[56:57], v[14:15], v[16:17]
	;; [unrolled: 1-line block ×6, first 2 shown]
	v_mad_u64_u32 v[11:12], null, s13, v60, v[5:6]
	v_mad_u64_u32 v[12:13], null, s13, v61, v[6:7]
	;; [unrolled: 1-line block ×6, first 2 shown]
	s_delay_alu instid0(VALU_DEP_4)
	v_mov_b32_e32 v41, v5
	v_mov_b32_e32 v31, v11
	;; [unrolled: 1-line block ×5, first 2 shown]
	v_add_co_u32 v28, vcc_lo, v166, v28
	v_mov_b32_e32 v49, v8
	v_lshlrev_b64 v[30:31], 4, v[30:31]
	v_lshlrev_b64 v[36:37], 4, v[38:39]
	v_add_co_ci_u32_e32 v29, vcc_lo, v167, v29, vcc_lo
	v_lshlrev_b64 v[38:39], 4, v[40:41]
	v_lshlrev_b64 v[40:41], 4, v[48:49]
	v_add_co_u32 v30, vcc_lo, v166, v30
	v_add_co_ci_u32_e32 v31, vcc_lo, v167, v31, vcc_lo
	v_add_co_u32 v36, vcc_lo, v166, v36
	v_add_f64 v[4:5], v[42:43], v[54:55]
	v_add_f64 v[6:7], v[56:57], -v[50:51]
	v_add_f64 v[8:9], v[52:53], v[58:59]
	v_add_f64 v[10:11], v[22:23], -v[34:35]
	v_add_f64 v[12:13], v[18:19], -v[32:33]
	v_add_f64 v[14:15], v[20:21], v[24:25]
	v_add_f64 v[16:17], v[32:33], v[18:19]
	v_add_f64 v[18:19], v[24:25], -v[20:21]
	v_add_f64 v[20:21], v[58:59], -v[52:53]
	v_add_f64 v[22:23], v[34:35], v[22:23]
	v_add_f64 v[24:25], v[54:55], -v[42:43]
	v_add_f64 v[26:27], v[50:51], v[56:57]
	v_lshlrev_b64 v[32:33], 4, v[44:45]
	v_add_co_ci_u32_e32 v37, vcc_lo, v167, v37, vcc_lo
	v_lshlrev_b64 v[34:35], 4, v[46:47]
	v_add_co_u32 v38, vcc_lo, v166, v38
	v_add_co_ci_u32_e32 v39, vcc_lo, v167, v39, vcc_lo
	v_add_co_u32 v32, vcc_lo, v166, v32
	v_add_co_ci_u32_e32 v33, vcc_lo, v167, v33, vcc_lo
	;; [unrolled: 2-line block ×4, first 2 shown]
	s_clause 0x6
	global_store_b128 v[28:29], v[0:3], off
	global_store_b128 v[30:31], v[4:7], off
	;; [unrolled: 1-line block ×7, first 2 shown]
.LBB0_20:
	s_nop 0
	s_sendmsg sendmsg(MSG_DEALLOC_VGPRS)
	s_endpgm
	.section	.rodata,"a",@progbits
	.p2align	6, 0x0
	.amdhsa_kernel fft_rtc_back_len1512_factors_2_2_2_3_3_3_7_wgs_63_tpt_63_halfLds_dp_op_CI_CI_sbrr_dirReg
		.amdhsa_group_segment_fixed_size 0
		.amdhsa_private_segment_fixed_size 0
		.amdhsa_kernarg_size 104
		.amdhsa_user_sgpr_count 15
		.amdhsa_user_sgpr_dispatch_ptr 0
		.amdhsa_user_sgpr_queue_ptr 0
		.amdhsa_user_sgpr_kernarg_segment_ptr 1
		.amdhsa_user_sgpr_dispatch_id 0
		.amdhsa_user_sgpr_private_segment_size 0
		.amdhsa_wavefront_size32 1
		.amdhsa_uses_dynamic_stack 0
		.amdhsa_enable_private_segment 0
		.amdhsa_system_sgpr_workgroup_id_x 1
		.amdhsa_system_sgpr_workgroup_id_y 0
		.amdhsa_system_sgpr_workgroup_id_z 0
		.amdhsa_system_sgpr_workgroup_info 0
		.amdhsa_system_vgpr_workitem_id 0
		.amdhsa_next_free_vgpr 247
		.amdhsa_next_free_sgpr 31
		.amdhsa_reserve_vcc 1
		.amdhsa_float_round_mode_32 0
		.amdhsa_float_round_mode_16_64 0
		.amdhsa_float_denorm_mode_32 3
		.amdhsa_float_denorm_mode_16_64 3
		.amdhsa_dx10_clamp 1
		.amdhsa_ieee_mode 1
		.amdhsa_fp16_overflow 0
		.amdhsa_workgroup_processor_mode 1
		.amdhsa_memory_ordered 1
		.amdhsa_forward_progress 0
		.amdhsa_shared_vgpr_count 0
		.amdhsa_exception_fp_ieee_invalid_op 0
		.amdhsa_exception_fp_denorm_src 0
		.amdhsa_exception_fp_ieee_div_zero 0
		.amdhsa_exception_fp_ieee_overflow 0
		.amdhsa_exception_fp_ieee_underflow 0
		.amdhsa_exception_fp_ieee_inexact 0
		.amdhsa_exception_int_div_zero 0
	.end_amdhsa_kernel
	.text
.Lfunc_end0:
	.size	fft_rtc_back_len1512_factors_2_2_2_3_3_3_7_wgs_63_tpt_63_halfLds_dp_op_CI_CI_sbrr_dirReg, .Lfunc_end0-fft_rtc_back_len1512_factors_2_2_2_3_3_3_7_wgs_63_tpt_63_halfLds_dp_op_CI_CI_sbrr_dirReg
                                        ; -- End function
	.section	.AMDGPU.csdata,"",@progbits
; Kernel info:
; codeLenInByte = 21996
; NumSgprs: 33
; NumVgprs: 247
; ScratchSize: 0
; MemoryBound: 1
; FloatMode: 240
; IeeeMode: 1
; LDSByteSize: 0 bytes/workgroup (compile time only)
; SGPRBlocks: 4
; VGPRBlocks: 30
; NumSGPRsForWavesPerEU: 33
; NumVGPRsForWavesPerEU: 247
; Occupancy: 5
; WaveLimiterHint : 1
; COMPUTE_PGM_RSRC2:SCRATCH_EN: 0
; COMPUTE_PGM_RSRC2:USER_SGPR: 15
; COMPUTE_PGM_RSRC2:TRAP_HANDLER: 0
; COMPUTE_PGM_RSRC2:TGID_X_EN: 1
; COMPUTE_PGM_RSRC2:TGID_Y_EN: 0
; COMPUTE_PGM_RSRC2:TGID_Z_EN: 0
; COMPUTE_PGM_RSRC2:TIDIG_COMP_CNT: 0
	.text
	.p2alignl 7, 3214868480
	.fill 96, 4, 3214868480
	.type	__hip_cuid_28ef9cf20b662b1d,@object ; @__hip_cuid_28ef9cf20b662b1d
	.section	.bss,"aw",@nobits
	.globl	__hip_cuid_28ef9cf20b662b1d
__hip_cuid_28ef9cf20b662b1d:
	.byte	0                               ; 0x0
	.size	__hip_cuid_28ef9cf20b662b1d, 1

	.ident	"AMD clang version 19.0.0git (https://github.com/RadeonOpenCompute/llvm-project roc-6.4.0 25133 c7fe45cf4b819c5991fe208aaa96edf142730f1d)"
	.section	".note.GNU-stack","",@progbits
	.addrsig
	.addrsig_sym __hip_cuid_28ef9cf20b662b1d
	.amdgpu_metadata
---
amdhsa.kernels:
  - .args:
      - .actual_access:  read_only
        .address_space:  global
        .offset:         0
        .size:           8
        .value_kind:     global_buffer
      - .offset:         8
        .size:           8
        .value_kind:     by_value
      - .actual_access:  read_only
        .address_space:  global
        .offset:         16
        .size:           8
        .value_kind:     global_buffer
      - .actual_access:  read_only
        .address_space:  global
        .offset:         24
        .size:           8
        .value_kind:     global_buffer
      - .actual_access:  read_only
        .address_space:  global
        .offset:         32
        .size:           8
        .value_kind:     global_buffer
      - .offset:         40
        .size:           8
        .value_kind:     by_value
      - .actual_access:  read_only
        .address_space:  global
        .offset:         48
        .size:           8
        .value_kind:     global_buffer
      - .actual_access:  read_only
        .address_space:  global
        .offset:         56
        .size:           8
        .value_kind:     global_buffer
      - .offset:         64
        .size:           4
        .value_kind:     by_value
      - .actual_access:  read_only
        .address_space:  global
        .offset:         72
        .size:           8
        .value_kind:     global_buffer
      - .actual_access:  read_only
        .address_space:  global
        .offset:         80
        .size:           8
        .value_kind:     global_buffer
      - .actual_access:  read_only
        .address_space:  global
        .offset:         88
        .size:           8
        .value_kind:     global_buffer
      - .actual_access:  write_only
        .address_space:  global
        .offset:         96
        .size:           8
        .value_kind:     global_buffer
    .group_segment_fixed_size: 0
    .kernarg_segment_align: 8
    .kernarg_segment_size: 104
    .language:       OpenCL C
    .language_version:
      - 2
      - 0
    .max_flat_workgroup_size: 63
    .name:           fft_rtc_back_len1512_factors_2_2_2_3_3_3_7_wgs_63_tpt_63_halfLds_dp_op_CI_CI_sbrr_dirReg
    .private_segment_fixed_size: 0
    .sgpr_count:     33
    .sgpr_spill_count: 0
    .symbol:         fft_rtc_back_len1512_factors_2_2_2_3_3_3_7_wgs_63_tpt_63_halfLds_dp_op_CI_CI_sbrr_dirReg.kd
    .uniform_work_group_size: 1
    .uses_dynamic_stack: false
    .vgpr_count:     247
    .vgpr_spill_count: 0
    .wavefront_size: 32
    .workgroup_processor_mode: 1
amdhsa.target:   amdgcn-amd-amdhsa--gfx1100
amdhsa.version:
  - 1
  - 2
...

	.end_amdgpu_metadata
